;; amdgpu-corpus repo=ROCm/rocFFT kind=compiled arch=gfx1201 opt=O3
	.text
	.amdgcn_target "amdgcn-amd-amdhsa--gfx1201"
	.amdhsa_code_object_version 6
	.protected	fft_rtc_back_len476_factors_17_2_7_2_wgs_102_tpt_34_halfLds_sp_op_CI_CI_unitstride_sbrr_R2C_dirReg ; -- Begin function fft_rtc_back_len476_factors_17_2_7_2_wgs_102_tpt_34_halfLds_sp_op_CI_CI_unitstride_sbrr_R2C_dirReg
	.globl	fft_rtc_back_len476_factors_17_2_7_2_wgs_102_tpt_34_halfLds_sp_op_CI_CI_unitstride_sbrr_R2C_dirReg
	.p2align	8
	.type	fft_rtc_back_len476_factors_17_2_7_2_wgs_102_tpt_34_halfLds_sp_op_CI_CI_unitstride_sbrr_R2C_dirReg,@function
fft_rtc_back_len476_factors_17_2_7_2_wgs_102_tpt_34_halfLds_sp_op_CI_CI_unitstride_sbrr_R2C_dirReg: ; @fft_rtc_back_len476_factors_17_2_7_2_wgs_102_tpt_34_halfLds_sp_op_CI_CI_unitstride_sbrr_R2C_dirReg
; %bb.0:
	s_load_b128 s[8:11], s[0:1], 0x0
	v_mul_u32_u24_e32 v1, 0x788, v0
	s_clause 0x1
	s_load_b128 s[4:7], s[0:1], 0x58
	s_load_b128 s[12:15], s[0:1], 0x18
	v_mov_b32_e32 v5, 0
	v_lshrrev_b32_e32 v3, 16, v1
	v_mov_b32_e32 v1, 0
	v_mov_b32_e32 v2, 0
	s_delay_alu instid0(VALU_DEP_3) | instskip(NEXT) | instid1(VALU_DEP_2)
	v_mad_co_u64_u32 v[3:4], null, ttmp9, 3, v[3:4]
	v_dual_mov_b32 v4, v5 :: v_dual_mov_b32 v33, v2
	s_delay_alu instid0(VALU_DEP_1) | instskip(NEXT) | instid1(VALU_DEP_3)
	v_dual_mov_b32 v32, v1 :: v_dual_mov_b32 v37, v4
	v_mov_b32_e32 v36, v3
	s_wait_kmcnt 0x0
	v_cmp_lt_u64_e64 s2, s[10:11], 2
	s_delay_alu instid0(VALU_DEP_1)
	s_and_b32 vcc_lo, exec_lo, s2
	s_cbranch_vccnz .LBB0_8
; %bb.1:
	s_load_b64 s[2:3], s[0:1], 0x10
	v_dual_mov_b32 v1, 0 :: v_dual_mov_b32 v8, v4
	v_dual_mov_b32 v2, 0 :: v_dual_mov_b32 v7, v3
	s_add_nc_u64 s[16:17], s[14:15], 8
	s_add_nc_u64 s[18:19], s[12:13], 8
	s_mov_b64 s[20:21], 1
	s_delay_alu instid0(VALU_DEP_1)
	v_dual_mov_b32 v33, v2 :: v_dual_mov_b32 v32, v1
	s_wait_kmcnt 0x0
	s_add_nc_u64 s[22:23], s[2:3], 8
	s_mov_b32 s3, 0
.LBB0_2:                                ; =>This Inner Loop Header: Depth=1
	s_load_b64 s[24:25], s[22:23], 0x0
                                        ; implicit-def: $vgpr36_vgpr37
	s_mov_b32 s2, exec_lo
	s_wait_kmcnt 0x0
	v_or_b32_e32 v6, s25, v8
	s_delay_alu instid0(VALU_DEP_1)
	v_cmpx_ne_u64_e32 0, v[5:6]
	s_wait_alu 0xfffe
	s_xor_b32 s26, exec_lo, s2
	s_cbranch_execz .LBB0_4
; %bb.3:                                ;   in Loop: Header=BB0_2 Depth=1
	s_cvt_f32_u32 s2, s24
	s_cvt_f32_u32 s27, s25
	s_sub_nc_u64 s[30:31], 0, s[24:25]
	s_wait_alu 0xfffe
	s_delay_alu instid0(SALU_CYCLE_1) | instskip(SKIP_1) | instid1(SALU_CYCLE_2)
	s_fmamk_f32 s2, s27, 0x4f800000, s2
	s_wait_alu 0xfffe
	v_s_rcp_f32 s2, s2
	s_delay_alu instid0(TRANS32_DEP_1) | instskip(SKIP_1) | instid1(SALU_CYCLE_2)
	s_mul_f32 s2, s2, 0x5f7ffffc
	s_wait_alu 0xfffe
	s_mul_f32 s27, s2, 0x2f800000
	s_wait_alu 0xfffe
	s_delay_alu instid0(SALU_CYCLE_2) | instskip(SKIP_1) | instid1(SALU_CYCLE_2)
	s_trunc_f32 s27, s27
	s_wait_alu 0xfffe
	s_fmamk_f32 s2, s27, 0xcf800000, s2
	s_cvt_u32_f32 s29, s27
	s_wait_alu 0xfffe
	s_delay_alu instid0(SALU_CYCLE_1) | instskip(SKIP_1) | instid1(SALU_CYCLE_2)
	s_cvt_u32_f32 s28, s2
	s_wait_alu 0xfffe
	s_mul_u64 s[34:35], s[30:31], s[28:29]
	s_wait_alu 0xfffe
	s_mul_hi_u32 s37, s28, s35
	s_mul_i32 s36, s28, s35
	s_mul_hi_u32 s2, s28, s34
	s_mul_i32 s33, s29, s34
	s_wait_alu 0xfffe
	s_add_nc_u64 s[36:37], s[2:3], s[36:37]
	s_mul_hi_u32 s27, s29, s34
	s_mul_hi_u32 s38, s29, s35
	s_add_co_u32 s2, s36, s33
	s_wait_alu 0xfffe
	s_add_co_ci_u32 s2, s37, s27
	s_mul_i32 s34, s29, s35
	s_add_co_ci_u32 s35, s38, 0
	s_wait_alu 0xfffe
	s_add_nc_u64 s[34:35], s[2:3], s[34:35]
	s_wait_alu 0xfffe
	v_add_co_u32 v4, s2, s28, s34
	s_delay_alu instid0(VALU_DEP_1) | instskip(SKIP_1) | instid1(VALU_DEP_1)
	s_cmp_lg_u32 s2, 0
	s_add_co_ci_u32 s29, s29, s35
	v_readfirstlane_b32 s28, v4
	s_wait_alu 0xfffe
	s_delay_alu instid0(VALU_DEP_1)
	s_mul_u64 s[30:31], s[30:31], s[28:29]
	s_wait_alu 0xfffe
	s_mul_hi_u32 s35, s28, s31
	s_mul_i32 s34, s28, s31
	s_mul_hi_u32 s2, s28, s30
	s_mul_i32 s33, s29, s30
	s_wait_alu 0xfffe
	s_add_nc_u64 s[34:35], s[2:3], s[34:35]
	s_mul_hi_u32 s27, s29, s30
	s_mul_hi_u32 s28, s29, s31
	s_wait_alu 0xfffe
	s_add_co_u32 s2, s34, s33
	s_add_co_ci_u32 s2, s35, s27
	s_mul_i32 s30, s29, s31
	s_add_co_ci_u32 s31, s28, 0
	s_wait_alu 0xfffe
	s_add_nc_u64 s[30:31], s[2:3], s[30:31]
	s_wait_alu 0xfffe
	v_add_co_u32 v4, s2, v4, s30
	s_delay_alu instid0(VALU_DEP_1) | instskip(SKIP_1) | instid1(VALU_DEP_1)
	s_cmp_lg_u32 s2, 0
	s_add_co_ci_u32 s2, s29, s31
	v_mul_hi_u32 v6, v7, v4
	s_wait_alu 0xfffe
	v_mad_co_u64_u32 v[9:10], null, v7, s2, 0
	v_mad_co_u64_u32 v[11:12], null, v8, v4, 0
	;; [unrolled: 1-line block ×3, first 2 shown]
	s_delay_alu instid0(VALU_DEP_3) | instskip(SKIP_1) | instid1(VALU_DEP_4)
	v_add_co_u32 v4, vcc_lo, v6, v9
	s_wait_alu 0xfffd
	v_add_co_ci_u32_e32 v6, vcc_lo, 0, v10, vcc_lo
	s_delay_alu instid0(VALU_DEP_2) | instskip(SKIP_1) | instid1(VALU_DEP_2)
	v_add_co_u32 v4, vcc_lo, v4, v11
	s_wait_alu 0xfffd
	v_add_co_ci_u32_e32 v4, vcc_lo, v6, v12, vcc_lo
	s_wait_alu 0xfffd
	v_add_co_ci_u32_e32 v6, vcc_lo, 0, v14, vcc_lo
	s_delay_alu instid0(VALU_DEP_2) | instskip(SKIP_1) | instid1(VALU_DEP_2)
	v_add_co_u32 v4, vcc_lo, v4, v13
	s_wait_alu 0xfffd
	v_add_co_ci_u32_e32 v6, vcc_lo, 0, v6, vcc_lo
	s_delay_alu instid0(VALU_DEP_2) | instskip(SKIP_1) | instid1(VALU_DEP_3)
	v_mul_lo_u32 v11, s25, v4
	v_mad_co_u64_u32 v[9:10], null, s24, v4, 0
	v_mul_lo_u32 v12, s24, v6
	s_delay_alu instid0(VALU_DEP_2) | instskip(NEXT) | instid1(VALU_DEP_2)
	v_sub_co_u32 v9, vcc_lo, v7, v9
	v_add3_u32 v10, v10, v12, v11
	s_delay_alu instid0(VALU_DEP_1) | instskip(SKIP_1) | instid1(VALU_DEP_1)
	v_sub_nc_u32_e32 v11, v8, v10
	s_wait_alu 0xfffd
	v_subrev_co_ci_u32_e64 v11, s2, s25, v11, vcc_lo
	v_add_co_u32 v12, s2, v4, 2
	s_wait_alu 0xf1ff
	v_add_co_ci_u32_e64 v13, s2, 0, v6, s2
	v_sub_co_u32 v14, s2, v9, s24
	v_sub_co_ci_u32_e32 v10, vcc_lo, v8, v10, vcc_lo
	s_wait_alu 0xf1ff
	v_subrev_co_ci_u32_e64 v11, s2, 0, v11, s2
	s_delay_alu instid0(VALU_DEP_3) | instskip(NEXT) | instid1(VALU_DEP_3)
	v_cmp_le_u32_e32 vcc_lo, s24, v14
	v_cmp_eq_u32_e64 s2, s25, v10
	s_wait_alu 0xfffd
	v_cndmask_b32_e64 v14, 0, -1, vcc_lo
	v_cmp_le_u32_e32 vcc_lo, s25, v11
	s_wait_alu 0xfffd
	v_cndmask_b32_e64 v15, 0, -1, vcc_lo
	v_cmp_le_u32_e32 vcc_lo, s24, v9
	;; [unrolled: 3-line block ×3, first 2 shown]
	s_wait_alu 0xfffd
	v_cndmask_b32_e64 v16, 0, -1, vcc_lo
	v_cmp_eq_u32_e32 vcc_lo, s25, v11
	s_wait_alu 0xf1ff
	s_delay_alu instid0(VALU_DEP_2)
	v_cndmask_b32_e64 v9, v16, v9, s2
	s_wait_alu 0xfffd
	v_cndmask_b32_e32 v11, v15, v14, vcc_lo
	v_add_co_u32 v14, vcc_lo, v4, 1
	s_wait_alu 0xfffd
	v_add_co_ci_u32_e32 v15, vcc_lo, 0, v6, vcc_lo
	s_delay_alu instid0(VALU_DEP_3) | instskip(SKIP_1) | instid1(VALU_DEP_2)
	v_cmp_ne_u32_e32 vcc_lo, 0, v11
	s_wait_alu 0xfffd
	v_dual_cndmask_b32 v10, v15, v13 :: v_dual_cndmask_b32 v11, v14, v12
	v_cmp_ne_u32_e32 vcc_lo, 0, v9
	s_wait_alu 0xfffd
	s_delay_alu instid0(VALU_DEP_2)
	v_dual_cndmask_b32 v37, v6, v10 :: v_dual_cndmask_b32 v36, v4, v11
.LBB0_4:                                ;   in Loop: Header=BB0_2 Depth=1
	s_wait_alu 0xfffe
	s_and_not1_saveexec_b32 s2, s26
	s_cbranch_execz .LBB0_6
; %bb.5:                                ;   in Loop: Header=BB0_2 Depth=1
	v_cvt_f32_u32_e32 v4, s24
	s_sub_co_i32 s26, 0, s24
	v_mov_b32_e32 v37, v5
	s_delay_alu instid0(VALU_DEP_2) | instskip(NEXT) | instid1(TRANS32_DEP_1)
	v_rcp_iflag_f32_e32 v4, v4
	v_mul_f32_e32 v4, 0x4f7ffffe, v4
	s_delay_alu instid0(VALU_DEP_1) | instskip(SKIP_1) | instid1(VALU_DEP_1)
	v_cvt_u32_f32_e32 v4, v4
	s_wait_alu 0xfffe
	v_mul_lo_u32 v6, s26, v4
	s_delay_alu instid0(VALU_DEP_1) | instskip(NEXT) | instid1(VALU_DEP_1)
	v_mul_hi_u32 v6, v4, v6
	v_add_nc_u32_e32 v4, v4, v6
	s_delay_alu instid0(VALU_DEP_1) | instskip(NEXT) | instid1(VALU_DEP_1)
	v_mul_hi_u32 v4, v7, v4
	v_mul_lo_u32 v6, v4, s24
	s_delay_alu instid0(VALU_DEP_1) | instskip(NEXT) | instid1(VALU_DEP_1)
	v_sub_nc_u32_e32 v6, v7, v6
	v_subrev_nc_u32_e32 v10, s24, v6
	v_cmp_le_u32_e32 vcc_lo, s24, v6
	s_wait_alu 0xfffd
	s_delay_alu instid0(VALU_DEP_2) | instskip(NEXT) | instid1(VALU_DEP_1)
	v_dual_cndmask_b32 v6, v6, v10 :: v_dual_add_nc_u32 v9, 1, v4
	v_cndmask_b32_e32 v4, v4, v9, vcc_lo
	s_delay_alu instid0(VALU_DEP_2) | instskip(NEXT) | instid1(VALU_DEP_2)
	v_cmp_le_u32_e32 vcc_lo, s24, v6
	v_add_nc_u32_e32 v9, 1, v4
	s_wait_alu 0xfffd
	s_delay_alu instid0(VALU_DEP_1)
	v_cndmask_b32_e32 v36, v4, v9, vcc_lo
.LBB0_6:                                ;   in Loop: Header=BB0_2 Depth=1
	s_wait_alu 0xfffe
	s_or_b32 exec_lo, exec_lo, s2
	v_mul_lo_u32 v4, v37, s24
	s_delay_alu instid0(VALU_DEP_2)
	v_mul_lo_u32 v6, v36, s25
	s_load_b64 s[26:27], s[18:19], 0x0
	v_mad_co_u64_u32 v[9:10], null, v36, s24, 0
	s_load_b64 s[24:25], s[16:17], 0x0
	s_add_nc_u64 s[20:21], s[20:21], 1
	s_add_nc_u64 s[16:17], s[16:17], 8
	s_wait_alu 0xfffe
	v_cmp_ge_u64_e64 s2, s[20:21], s[10:11]
	s_add_nc_u64 s[18:19], s[18:19], 8
	s_add_nc_u64 s[22:23], s[22:23], 8
	v_add3_u32 v4, v10, v6, v4
	v_sub_co_u32 v6, vcc_lo, v7, v9
	s_wait_alu 0xfffd
	s_delay_alu instid0(VALU_DEP_2) | instskip(SKIP_2) | instid1(VALU_DEP_1)
	v_sub_co_ci_u32_e32 v4, vcc_lo, v8, v4, vcc_lo
	s_and_b32 vcc_lo, exec_lo, s2
	s_wait_kmcnt 0x0
	v_mul_lo_u32 v7, s26, v4
	v_mul_lo_u32 v8, s27, v6
	v_mad_co_u64_u32 v[1:2], null, s26, v6, v[1:2]
	v_mul_lo_u32 v4, s24, v4
	v_mul_lo_u32 v9, s25, v6
	v_mad_co_u64_u32 v[32:33], null, s24, v6, v[32:33]
	s_delay_alu instid0(VALU_DEP_4) | instskip(NEXT) | instid1(VALU_DEP_2)
	v_add3_u32 v2, v8, v2, v7
	v_add3_u32 v33, v9, v33, v4
	s_wait_alu 0xfffe
	s_cbranch_vccnz .LBB0_8
; %bb.7:                                ;   in Loop: Header=BB0_2 Depth=1
	v_dual_mov_b32 v7, v36 :: v_dual_mov_b32 v8, v37
	s_branch .LBB0_2
.LBB0_8:
	s_load_b64 s[0:1], s[0:1], 0x28
	v_mul_hi_u32 v4, 0xaaaaaaab, v3
                                        ; implicit-def: $vgpr34
	s_delay_alu instid0(VALU_DEP_1) | instskip(NEXT) | instid1(VALU_DEP_1)
	v_lshrrev_b32_e32 v4, 1, v4
	v_lshl_add_u32 v5, v4, 1, v4
	v_mul_hi_u32 v4, 0x7878788, v0
	s_delay_alu instid0(VALU_DEP_2) | instskip(SKIP_3) | instid1(VALU_DEP_1)
	v_sub_nc_u32_e32 v3, v3, v5
	s_wait_kmcnt 0x0
	v_cmp_gt_u64_e32 vcc_lo, s[0:1], v[36:37]
	v_cmp_le_u64_e64 s0, s[0:1], v[36:37]
	s_and_saveexec_b32 s1, s0
	s_wait_alu 0xfffe
	s_xor_b32 s0, exec_lo, s1
; %bb.9:
	v_mul_u32_u24_e32 v1, 34, v4
                                        ; implicit-def: $vgpr4
	s_delay_alu instid0(VALU_DEP_1)
	v_sub_nc_u32_e32 v34, v0, v1
                                        ; implicit-def: $vgpr0
                                        ; implicit-def: $vgpr1_vgpr2
; %bb.10:
	s_wait_alu 0xfffe
	s_or_saveexec_b32 s1, s0
	v_mul_u32_u24_e32 v3, 0x1dd, v3
	s_lshl_b64 s[2:3], s[10:11], 3
	s_delay_alu instid0(VALU_DEP_1)
	v_lshlrev_b32_e32 v35, 3, v3
	s_wait_alu 0xfffe
	s_xor_b32 exec_lo, exec_lo, s1
	s_cbranch_execz .LBB0_12
; %bb.11:
	s_add_nc_u64 s[10:11], s[12:13], s[2:3]
	v_lshlrev_b64_e32 v[1:2], 3, v[1:2]
	s_load_b64 s[10:11], s[10:11], 0x0
	s_wait_kmcnt 0x0
	v_mul_lo_u32 v3, s11, v36
	v_mul_lo_u32 v7, s10, v37
	v_mad_co_u64_u32 v[5:6], null, s10, v36, 0
	s_delay_alu instid0(VALU_DEP_1) | instskip(SKIP_1) | instid1(VALU_DEP_2)
	v_add3_u32 v6, v6, v7, v3
	v_mul_u32_u24_e32 v7, 34, v4
	v_lshlrev_b64_e32 v[3:4], 3, v[5:6]
	s_delay_alu instid0(VALU_DEP_2) | instskip(NEXT) | instid1(VALU_DEP_1)
	v_sub_nc_u32_e32 v34, v0, v7
	v_lshlrev_b32_e32 v28, 3, v34
	s_delay_alu instid0(VALU_DEP_3) | instskip(SKIP_1) | instid1(VALU_DEP_4)
	v_add_co_u32 v0, s0, s4, v3
	s_wait_alu 0xf1ff
	v_add_co_ci_u32_e64 v3, s0, s5, v4, s0
	s_delay_alu instid0(VALU_DEP_2) | instskip(SKIP_1) | instid1(VALU_DEP_2)
	v_add_co_u32 v0, s0, v0, v1
	s_wait_alu 0xf1ff
	v_add_co_ci_u32_e64 v1, s0, v3, v2, s0
	s_delay_alu instid0(VALU_DEP_2) | instskip(SKIP_1) | instid1(VALU_DEP_2)
	v_add_co_u32 v0, s0, v0, v28
	s_wait_alu 0xf1ff
	v_add_co_ci_u32_e64 v1, s0, 0, v1, s0
	s_clause 0xd
	global_load_b64 v[2:3], v[0:1], off
	global_load_b64 v[4:5], v[0:1], off offset:272
	global_load_b64 v[6:7], v[0:1], off offset:544
	global_load_b64 v[8:9], v[0:1], off offset:816
	global_load_b64 v[10:11], v[0:1], off offset:1088
	global_load_b64 v[12:13], v[0:1], off offset:1360
	global_load_b64 v[14:15], v[0:1], off offset:1632
	global_load_b64 v[16:17], v[0:1], off offset:1904
	global_load_b64 v[18:19], v[0:1], off offset:2176
	global_load_b64 v[20:21], v[0:1], off offset:2448
	global_load_b64 v[22:23], v[0:1], off offset:2720
	global_load_b64 v[24:25], v[0:1], off offset:2992
	global_load_b64 v[26:27], v[0:1], off offset:3264
	global_load_b64 v[0:1], v[0:1], off offset:3536
	v_add3_u32 v28, 0, v35, v28
	s_delay_alu instid0(VALU_DEP_1)
	v_add_nc_u32_e32 v29, 0x800, v28
	s_wait_loadcnt 0xc
	ds_store_2addr_b64 v28, v[2:3], v[4:5] offset1:34
	s_wait_loadcnt 0xa
	ds_store_2addr_b64 v28, v[6:7], v[8:9] offset0:68 offset1:102
	s_wait_loadcnt 0x8
	ds_store_2addr_b64 v28, v[10:11], v[12:13] offset0:136 offset1:170
	;; [unrolled: 2-line block ×6, first 2 shown]
.LBB0_12:
	s_or_b32 exec_lo, exec_lo, s1
	v_lshlrev_b32_e32 v42, 3, v34
	v_add_nc_u32_e32 v40, 0, v35
	global_wb scope:SCOPE_SE
	s_wait_dscnt 0x0
	s_barrier_signal -1
	s_barrier_wait -1
	v_add_nc_u32_e32 v0, 0, v42
	v_add_nc_u32_e32 v41, v40, v42
	global_inv scope:SCOPE_SE
	s_add_nc_u64 s[2:3], s[14:15], s[2:3]
	s_mov_b32 s1, exec_lo
	v_add_nc_u32_e32 v43, v0, v35
	ds_load_b64 v[38:39], v41
	ds_load_2addr_b64 v[28:31], v43 offset0:28 offset1:56
	v_add_nc_u32_e32 v45, 0x400, v43
	v_add_nc_u32_e32 v44, 0x800, v43
	ds_load_2addr_b64 v[24:27], v43 offset0:84 offset1:112
	ds_load_2addr_b64 v[20:23], v43 offset0:140 offset1:168
	;; [unrolled: 1-line block ×7, first 2 shown]
	global_wb scope:SCOPE_SE
	s_wait_dscnt 0x0
	s_barrier_signal -1
	s_barrier_wait -1
	global_inv scope:SCOPE_SE
	v_cmpx_gt_u32_e32 28, v34
	s_cbranch_execz .LBB0_14
; %bb.13:
	v_dual_sub_f32 v51, v28, v2 :: v_dual_add_f32 v66, v3, v29
	v_dual_sub_f32 v48, v30, v0 :: v_dual_add_f32 v65, v1, v31
	s_delay_alu instid0(VALU_DEP_2) | instskip(NEXT) | instid1(VALU_DEP_2)
	v_dual_sub_f32 v46, v24, v6 :: v_dual_mul_f32 v77, 0xbf4c4adb, v51
	v_dual_add_f32 v61, v5, v27 :: v_dual_mul_f32 v78, 0x3f763a35, v48
	v_dual_add_f32 v64, v7, v25 :: v_dual_sub_f32 v47, v26, v4
	s_delay_alu instid0(VALU_DEP_3) | instskip(NEXT) | instid1(VALU_DEP_4)
	v_dual_fmamk_f32 v50, v66, 0xbf1a4643, v77 :: v_dual_sub_f32 v49, v20, v10
	v_dual_add_f32 v62, v11, v21 :: v_dual_mul_f32 v79, 0xbeb8f4ab, v46
	s_delay_alu instid0(VALU_DEP_2) | instskip(NEXT) | instid1(VALU_DEP_4)
	v_dual_fmamk_f32 v52, v65, 0xbe8c1d8e, v78 :: v_dual_add_f32 v53, v39, v50
	v_mul_f32_e32 v80, 0xbf06c442, v47
	s_delay_alu instid0(VALU_DEP_3) | instskip(SKIP_1) | instid1(VALU_DEP_4)
	v_dual_sub_f32 v67, v29, v3 :: v_dual_fmamk_f32 v54, v64, 0x3f6eb680, v79
	v_sub_f32_e32 v69, v31, v1
	v_dual_add_f32 v52, v52, v53 :: v_dual_add_f32 v53, v2, v28
	s_delay_alu instid0(VALU_DEP_4) | instskip(NEXT) | instid1(VALU_DEP_2)
	v_dual_fmamk_f32 v55, v61, 0xbf59a7d5, v80 :: v_dual_sub_f32 v50, v22, v8
	v_dual_add_f32 v63, v9, v23 :: v_dual_add_f32 v52, v54, v52
	v_dual_mul_f32 v83, 0xbf4c4adb, v67 :: v_dual_add_f32 v54, v0, v30
	v_sub_f32_e32 v70, v25, v7
	v_dual_sub_f32 v74, v23, v9 :: v_dual_mul_f32 v91, 0x3eb8f4ab, v48
	s_delay_alu instid0(VALU_DEP_4) | instskip(NEXT) | instid1(VALU_DEP_4)
	v_dual_add_f32 v52, v55, v52 :: v_dual_mul_f32 v81, 0x3f763a35, v69
	v_fma_f32 v55, 0xbf1a4643, v53, -v83
	v_mul_f32_e32 v86, 0x3f7ee86f, v49
	v_sub_f32_e32 v71, v27, v5
	v_dual_add_f32 v68, v15, v17 :: v_dual_mul_f32 v87, 0xbf2c7751, v74
	s_delay_alu instid0(VALU_DEP_4) | instskip(NEXT) | instid1(VALU_DEP_4)
	v_add_f32_e32 v57, v38, v55
	v_fmamk_f32 v56, v62, 0x3dbcf732, v86
	v_fma_f32 v58, 0xbe8c1d8e, v54, -v81
	v_dual_add_f32 v55, v6, v24 :: v_dual_mul_f32 v82, 0xbeb8f4ab, v70
	v_sub_f32_e32 v72, v21, v11
	s_delay_alu instid0(VALU_DEP_4) | instskip(SKIP_4) | instid1(VALU_DEP_4)
	v_add_f32_e32 v56, v56, v52
	v_mul_f32_e32 v88, 0xbf2c7751, v50
	v_sub_f32_e32 v52, v16, v14
	v_dual_add_f32 v58, v58, v57 :: v_dual_add_f32 v57, v4, v26
	v_fma_f32 v60, 0x3f6eb680, v55, -v82
	v_fmamk_f32 v59, v63, 0x3f3d2fb0, v88
	v_mul_f32_e32 v84, 0xbf06c442, v71
	v_mul_f32_e32 v85, 0x3f7ee86f, v72
	v_dual_mul_f32 v76, 0xbe3c28d5, v52 :: v_dual_mul_f32 v93, 0xbe3c28d5, v51
	s_delay_alu instid0(VALU_DEP_4) | instskip(SKIP_2) | instid1(VALU_DEP_4)
	v_add_f32_e32 v75, v59, v56
	v_add_f32_e32 v59, v8, v22
	v_fma_f32 v73, 0xbf59a7d5, v57, -v84
	v_dual_fmamk_f32 v89, v68, 0xbf7ba420, v76 :: v_dual_sub_f32 v56, v18, v12
	v_dual_fmamk_f32 v97, v65, 0x3f6eb680, v91 :: v_dual_add_f32 v60, v60, v58
	s_delay_alu instid0(VALU_DEP_2) | instskip(NEXT) | instid1(VALU_DEP_3)
	v_dual_add_f32 v29, v39, v29 :: v_dual_add_f32 v94, v89, v75
	v_mul_f32_e32 v89, 0x3f65296c, v56
	v_add_f32_e32 v58, v10, v20
	s_delay_alu instid0(VALU_DEP_4) | instskip(NEXT) | instid1(VALU_DEP_4)
	v_add_f32_e32 v60, v73, v60
	v_dual_fmamk_f32 v90, v66, 0xbf7ba420, v93 :: v_dual_add_f32 v29, v29, v31
	v_add_f32_e32 v28, v38, v28
	s_delay_alu instid0(VALU_DEP_4) | instskip(SKIP_1) | instid1(VALU_DEP_4)
	v_fma_f32 v73, 0x3dbcf732, v58, -v85
	v_fma_f32 v75, 0x3f3d2fb0, v59, -v87
	v_dual_add_f32 v96, v39, v90 :: v_dual_add_f32 v25, v29, v25
	v_dual_mul_f32 v92, 0xbf06c442, v46 :: v_dual_sub_f32 v31, v19, v13
	s_delay_alu instid0(VALU_DEP_4) | instskip(SKIP_4) | instid1(VALU_DEP_4)
	v_add_f32_e32 v60, v73, v60
	v_add_f32_e32 v73, v13, v19
	v_dual_mul_f32 v29, 0xbf4c4adb, v49 :: v_dual_add_f32 v28, v28, v30
	v_dual_add_f32 v100, v25, v27 :: v_dual_mul_f32 v27, 0x3eb8f4ab, v69
	v_dual_add_f32 v96, v97, v96 :: v_dual_fmamk_f32 v97, v64, 0xbf59a7d5, v92
	v_dual_add_f32 v95, v75, v60 :: v_dual_fmamk_f32 v104, v73, 0x3ee437d1, v89
	s_delay_alu instid0(VALU_DEP_3)
	v_fma_f32 v102, 0x3f6eb680, v54, -v27
	v_add_f32_e32 v24, v28, v24
	v_mul_f32_e32 v28, 0xbe3c28d5, v67
	v_dual_add_f32 v96, v97, v96 :: v_dual_mul_f32 v103, 0xbf06c442, v70
	v_mul_f32_e32 v105, 0x3f2c7751, v71
	v_sub_f32_e32 v75, v17, v15
	s_delay_alu instid0(VALU_DEP_4)
	v_fma_f32 v25, 0xbf7ba420, v53, -v28
	v_mul_f32_e32 v98, 0x3f2c7751, v47
	v_mul_f32_e32 v108, 0xbf4c4adb, v72
	v_fma_f32 v107, 0x3f3d2fb0, v57, -v105
	v_fma_f32 v93, 0xbf7ba420, v66, -v93
	v_add_f32_e32 v25, v38, v25
	v_dual_add_f32 v60, v14, v16 :: v_dual_fmamk_f32 v97, v61, 0x3f3d2fb0, v98
	v_fmac_f32_e32 v27, 0x3f6eb680, v54
	s_delay_alu instid0(VALU_DEP_4) | instskip(NEXT) | instid1(VALU_DEP_4)
	v_add_f32_e32 v93, v39, v93
	v_add_f32_e32 v25, v102, v25
	v_fma_f32 v102, 0xbf59a7d5, v55, -v103
	v_add_f32_e32 v96, v97, v96
	v_dual_mul_f32 v90, 0xbe3c28d5, v75 :: v_dual_add_f32 v101, v24, v26
	v_mul_f32_e32 v26, 0x3f65296c, v50
	s_delay_alu instid0(VALU_DEP_4) | instskip(SKIP_1) | instid1(VALU_DEP_4)
	v_dual_add_f32 v102, v102, v25 :: v_dual_add_f32 v25, v104, v94
	v_fma_f32 v104, 0xbf1a4643, v58, -v108
	v_fma_f32 v99, 0xbf7ba420, v60, -v90
	v_add_f32_e32 v30, v12, v18
	s_delay_alu instid0(VALU_DEP_4)
	v_add_f32_e32 v102, v107, v102
	v_fmamk_f32 v24, v62, 0xbf1a4643, v29
	v_mul_f32_e32 v97, 0x3f65296c, v31
	v_fmac_f32_e32 v28, 0xbf7ba420, v53
	v_fma_f32 v91, 0x3f6eb680, v65, -v91
	v_mul_f32_e32 v106, 0xbf763a35, v52
	v_add_f32_e32 v24, v24, v96
	v_fmamk_f32 v96, v63, 0x3ee437d1, v26
	v_add_f32_e32 v95, v99, v95
	v_fma_f32 v99, 0x3ee437d1, v30, -v97
	v_dual_mul_f32 v107, 0x3f65296c, v74 :: v_dual_add_f32 v28, v38, v28
	s_delay_alu instid0(VALU_DEP_4) | instskip(SKIP_1) | instid1(VALU_DEP_3)
	v_dual_add_f32 v94, v96, v24 :: v_dual_fmac_f32 v103, 0xbf59a7d5, v55
	v_dual_add_f32 v91, v91, v93 :: v_dual_fmamk_f32 v96, v68, 0xbe8c1d8e, v106
	v_add_f32_e32 v27, v27, v28
	v_fma_f32 v92, 0xbf59a7d5, v64, -v92
	v_dual_add_f32 v24, v99, v95 :: v_dual_fmac_f32 v105, 0x3f3d2fb0, v57
	s_delay_alu instid0(VALU_DEP_4)
	v_add_f32_e32 v94, v96, v94
	v_add_f32_e32 v95, v104, v102
	v_fma_f32 v96, 0x3ee437d1, v59, -v107
	v_fmac_f32_e32 v107, 0x3ee437d1, v59
	v_mul_f32_e32 v99, 0xbf763a35, v75
	v_add_f32_e32 v28, v92, v91
	v_fma_f32 v91, 0x3f3d2fb0, v61, -v98
	v_add_f32_e32 v95, v96, v95
	v_fma_f32 v29, 0xbf1a4643, v62, -v29
	v_fma_f32 v96, 0xbe8c1d8e, v60, -v99
	v_fmac_f32_e32 v99, 0xbe8c1d8e, v60
	v_add_f32_e32 v28, v91, v28
	v_mul_f32_e32 v98, 0x3f7ee86f, v31
	s_delay_alu instid0(VALU_DEP_4) | instskip(SKIP_1) | instid1(VALU_DEP_4)
	v_dual_add_f32 v20, v101, v20 :: v_dual_add_f32 v93, v96, v95
	v_mul_f32_e32 v95, 0x3f7ee86f, v56
	v_add_f32_e32 v28, v29, v28
	v_fma_f32 v29, 0x3ee437d1, v63, -v26
	v_add_f32_e32 v96, v103, v27
	v_fma_f32 v91, 0x3dbcf732, v30, -v98
	v_fmamk_f32 v92, v73, 0x3dbcf732, v95
	v_fma_f32 v95, 0x3dbcf732, v73, -v95
	v_add_f32_e32 v28, v29, v28
	v_fma_f32 v29, 0xbe8c1d8e, v68, -v106
	v_add_f32_e32 v20, v20, v22
	v_dual_add_f32 v27, v92, v94 :: v_dual_add_f32 v94, v105, v96
	v_mul_f32_e32 v92, 0xbf59a7d5, v66
	s_delay_alu instid0(VALU_DEP_4) | instskip(SKIP_4) | instid1(VALU_DEP_4)
	v_add_f32_e32 v28, v29, v28
	v_fmac_f32_e32 v108, 0xbf1a4643, v58
	v_add_f32_e32 v26, v91, v93
	v_dual_mul_f32 v93, 0x3ee437d1, v65 :: v_dual_add_f32 v16, v20, v16
	v_fmac_f32_e32 v83, 0xbf1a4643, v53
	v_dual_add_f32 v91, v108, v94 :: v_dual_fmamk_f32 v94, v51, 0x3f06c442, v92
	v_fma_f32 v77, 0xbf1a4643, v66, -v77
	s_delay_alu instid0(VALU_DEP_3) | instskip(NEXT) | instid1(VALU_DEP_3)
	v_dual_fmamk_f32 v96, v48, 0xbf65296c, v93 :: v_dual_add_f32 v83, v38, v83
	v_add_f32_e32 v91, v107, v91
	s_delay_alu instid0(VALU_DEP_4) | instskip(SKIP_2) | instid1(VALU_DEP_3)
	v_dual_add_f32 v29, v39, v94 :: v_dual_mul_f32 v94, 0x3dbcf732, v64
	v_fmac_f32_e32 v81, 0xbe8c1d8e, v54
	v_fmac_f32_e32 v82, 0x3f6eb680, v55
	v_dual_add_f32 v99, v99, v91 :: v_dual_add_f32 v96, v96, v29
	s_delay_alu instid0(VALU_DEP_3)
	v_dual_fmamk_f32 v102, v46, 0x3f7ee86f, v94 :: v_dual_add_f32 v81, v81, v83
	v_mul_f32_e32 v91, 0xbf1a4643, v61
	v_dual_add_f32 v29, v95, v28 :: v_dual_add_f32 v28, v100, v21
	v_mul_f32_e32 v21, 0x3f6eb680, v62
	v_mul_f32_e32 v20, 0xbf7ba420, v63
	;; [unrolled: 1-line block ×3, first 2 shown]
	v_fma_f32 v86, 0x3dbcf732, v62, -v86
	v_add_f32_e32 v23, v28, v23
	v_dual_fmamk_f32 v101, v49, 0x3eb8f4ab, v21 :: v_dual_add_f32 v100, v102, v96
	v_fmamk_f32 v102, v47, 0xbf4c4adb, v91
	v_fmamk_f32 v103, v53, 0xbf59a7d5, v95
	s_delay_alu instid0(VALU_DEP_4)
	v_add_f32_e32 v17, v23, v17
	v_mul_f32_e32 v23, 0x3f4c4adb, v71
	v_mul_f32_e32 v96, 0x3f65296c, v69
	v_add_f32_e32 v100, v102, v100
	v_add_f32_e32 v102, v38, v103
	v_fma_f32 v76, 0xbf7ba420, v68, -v76
	v_fmac_f32_e32 v84, 0xbf59a7d5, v57
	s_delay_alu instid0(VALU_DEP_4)
	v_dual_fmamk_f32 v103, v54, 0x3ee437d1, v96 :: v_dual_add_f32 v22, v101, v100
	v_dual_add_f32 v100, v17, v19 :: v_dual_add_f32 v101, v16, v18
	v_add_f32_e32 v17, v39, v77
	v_fma_f32 v18, 0xbe8c1d8e, v65, -v78
	v_mul_f32_e32 v19, 0x3f3d2fb0, v68
	v_fmac_f32_e32 v87, 0x3f3d2fb0, v59
	v_mul_f32_e32 v78, 0xbeb8f4ab, v72
	v_fmac_f32_e32 v85, 0x3dbcf732, v58
	v_add_f32_e32 v17, v18, v17
	v_fma_f32 v18, 0x3f6eb680, v64, -v79
	v_fmac_f32_e32 v98, 0x3dbcf732, v30
	v_dual_add_f32 v12, v101, v12 :: v_dual_mul_f32 v101, 0xbe3c28d5, v69
	v_mul_f32_e32 v79, 0xbe3c28d5, v74
	s_delay_alu instid0(VALU_DEP_4) | instskip(SKIP_1) | instid1(VALU_DEP_4)
	v_add_f32_e32 v17, v18, v17
	v_fma_f32 v18, 0xbf59a7d5, v61, -v80
	v_add_f32_e32 v12, v12, v14
	v_mul_f32_e32 v105, 0x3f763a35, v70
	v_mul_f32_e32 v106, 0x3ee437d1, v62
	v_dual_mul_f32 v104, 0x3ee437d1, v61 :: v_dual_fmac_f32 v97, 0x3ee437d1, v30
	v_add_f32_e32 v17, v18, v17
	v_mul_f32_e32 v18, 0xbe8c1d8e, v73
	v_add_f32_e32 v28, v98, v99
	v_add_f32_e32 v98, v103, v102
	v_mul_f32_e32 v99, 0xbf7ee86f, v70
	v_add_f32_e32 v17, v86, v17
	v_fma_f32 v86, 0x3f3d2fb0, v63, -v88
	v_mul_f32_e32 v102, 0xbf59a7d5, v65
	v_fmamk_f32 v83, v56, 0x3f763a35, v18
	v_add_f32_e32 v8, v12, v8
	v_mul_f32_e32 v88, 0xbe8c1d8e, v66
	v_add_f32_e32 v86, v86, v17
	v_fmac_f32_e32 v90, 0xbf7ba420, v60
	s_delay_alu instid0(VALU_DEP_4) | instskip(SKIP_1) | instid1(VALU_DEP_4)
	v_dual_mul_f32 v107, 0xbf59a7d5, v63 :: v_dual_add_f32 v10, v8, v10
	v_mul_f32_e32 v111, 0x3ee437d1, v66
	v_add_f32_e32 v76, v76, v86
	v_fma_f32 v86, 0x3ee437d1, v73, -v89
	v_mul_f32_e32 v89, 0x3f6eb680, v68
	v_add_f32_e32 v17, v82, v81
	v_fmamk_f32 v77, v50, 0x3e3c28d5, v20
	v_fmamk_f32 v82, v48, 0xbf06c442, v102
	;; [unrolled: 1-line block ×3, first 2 shown]
	v_add_f32_e32 v4, v10, v4
	v_add_f32_e32 v84, v84, v17
	v_dual_add_f32 v22, v77, v22 :: v_dual_fmamk_f32 v77, v52, 0xbf2c7751, v19
	v_mul_f32_e32 v10, 0xbf1a4643, v73
	v_fmac_f32_e32 v92, 0xbf06c442, v51
	v_fmac_f32_e32 v93, 0x3f65296c, v48
	s_delay_alu instid0(VALU_DEP_4)
	v_dual_mul_f32 v133, 0xbf7ba420, v61 :: v_dual_add_f32 v80, v77, v22
	v_add_f32_e32 v16, v16, v98
	v_fmamk_f32 v98, v57, 0xbf1a4643, v23
	v_fmamk_f32 v22, v59, 0xbf7ba420, v79
	v_mul_f32_e32 v77, 0x3f2c7751, v75
	v_add_f32_e32 v17, v83, v80
	v_add_f32_e32 v80, v85, v84
	;; [unrolled: 1-line block ×3, first 2 shown]
	v_fmamk_f32 v98, v58, 0x3f6eb680, v78
	v_mul_f32_e32 v83, 0xbf7ba420, v62
	s_delay_alu instid0(VALU_DEP_4) | instskip(NEXT) | instid1(VALU_DEP_3)
	v_dual_mul_f32 v85, 0x3f06c442, v69 :: v_dual_add_f32 v80, v87, v80
	v_dual_mul_f32 v87, 0x3dbcf732, v63 :: v_dual_add_f32 v16, v98, v16
	v_mul_f32_e32 v84, 0xbf763a35, v67
	s_delay_alu instid0(VALU_DEP_3) | instskip(SKIP_1) | instid1(VALU_DEP_4)
	v_fmamk_f32 v14, v54, 0xbf59a7d5, v85
	v_dual_add_f32 v92, v39, v92 :: v_dual_fmac_f32 v91, 0x3f4c4adb, v47
	v_add_f32_e32 v16, v22, v16
	v_fmamk_f32 v8, v50, 0xbf7ee86f, v87
	v_mul_f32_e32 v22, 0xbf763a35, v31
	s_delay_alu instid0(VALU_DEP_4) | instskip(SKIP_1) | instid1(VALU_DEP_3)
	v_dual_add_f32 v92, v93, v92 :: v_dual_fmac_f32 v21, 0xbeb8f4ab, v49
	v_dual_mul_f32 v136, 0xbf59a7d5, v73 :: v_dual_mul_f32 v139, 0xbf59a7d5, v62
	v_fmamk_f32 v103, v30, 0xbe8c1d8e, v22
	v_add_f32_e32 v13, v100, v13
	v_dual_mul_f32 v115, 0xbf7ba420, v64 :: v_dual_add_f32 v4, v4, v6
	v_fmamk_f32 v138, v47, 0x3e3c28d5, v133
	v_mul_f32_e32 v109, 0xbf1a4643, v68
	s_delay_alu instid0(VALU_DEP_4) | instskip(NEXT) | instid1(VALU_DEP_4)
	v_dual_add_f32 v13, v13, v15 :: v_dual_fmamk_f32 v98, v60, 0x3f3d2fb0, v77
	v_dual_mul_f32 v15, 0x3f2c7751, v70 :: v_dual_add_f32 v0, v4, v0
	v_mul_f32_e32 v117, 0xbe8c1d8e, v61
	s_delay_alu instid0(VALU_DEP_3) | instskip(SKIP_1) | instid1(VALU_DEP_4)
	v_dual_add_f32 v9, v13, v9 :: v_dual_add_f32 v16, v98, v16
	v_fmamk_f32 v98, v51, 0x3f763a35, v88
	v_fmamk_f32 v13, v55, 0x3f3d2fb0, v15
	v_mul_f32_e32 v113, 0xbf1a4643, v65
	v_mul_f32_e32 v123, 0x3dbcf732, v68
	v_add_f32_e32 v16, v103, v16
	v_dual_add_f32 v81, v39, v98 :: v_dual_mul_f32 v98, 0x3f3d2fb0, v64
	v_fmamk_f32 v103, v54, 0xbf7ba420, v101
	v_fmac_f32_e32 v87, 0x3f7ee86f, v50
	v_dual_mul_f32 v110, 0xbf06c442, v74 :: v_dual_mul_f32 v141, 0xbf06c442, v31
	s_delay_alu instid0(VALU_DEP_4) | instskip(SKIP_3) | instid1(VALU_DEP_3)
	v_add_f32_e32 v81, v82, v81
	v_fmamk_f32 v82, v46, 0xbf2c7751, v98
	v_mul_f32_e32 v127, 0x3dbcf732, v65
	v_dual_mul_f32 v145, 0x3f65296c, v75 :: v_dual_add_f32 v0, v0, v2
	v_dual_mul_f32 v130, 0xbf1a4643, v64 :: v_dual_add_f32 v81, v82, v81
	v_fmamk_f32 v82, v47, 0x3f65296c, v104
	v_mul_f32_e32 v119, 0x3f3d2fb0, v62
	v_mul_f32_e32 v112, 0x3f4c4adb, v75
	v_fmamk_f32 v129, v48, 0x3f7ee86f, v127
	v_mul_f32_e32 v114, 0x3f3d2fb0, v73
	v_dual_add_f32 v81, v82, v81 :: v_dual_fmamk_f32 v82, v49, 0x3e3c28d5, v83
	v_fma_f32 v78, 0x3f6eb680, v58, -v78
	v_fmamk_f32 v142, v49, 0xbf06c442, v139
	v_mul_f32_e32 v108, 0xbf65296c, v72
	v_dual_mul_f32 v120, 0xbf4c4adb, v69 :: v_dual_mul_f32 v137, 0xbf4c4adb, v70
	v_dual_add_f32 v81, v82, v81 :: v_dual_fmamk_f32 v82, v53, 0xbe8c1d8e, v84
	v_mul_f32_e32 v121, 0x3f6eb680, v63
	v_mul_f32_e32 v143, 0xbe8c1d8e, v63
	v_fmac_f32_e32 v20, 0xbe3c28d5, v50
	v_mul_f32_e32 v144, 0x3ee437d1, v68
	v_add_f32_e32 v82, v38, v82
	v_dual_fmac_f32 v98, 0x3f2c7751, v46 :: v_dual_fmac_f32 v19, 0x3f2c7751, v52
	v_mul_f32_e32 v132, 0xbf2c7751, v67
	v_mul_f32_e32 v134, 0xbf7ee86f, v69
	s_delay_alu instid0(VALU_DEP_4) | instskip(SKIP_3) | instid1(VALU_DEP_4)
	v_add_f32_e32 v12, v14, v82
	v_mul_f32_e32 v82, 0xbf65296c, v71
	v_dual_add_f32 v14, v9, v11 :: v_dual_mul_f32 v11, 0xbe3c28d5, v72
	v_mul_f32_e32 v147, 0x3eb8f4ab, v31
	v_add_f32_e32 v9, v13, v12
	s_delay_alu instid0(VALU_DEP_4)
	v_dual_fmamk_f32 v12, v57, 0x3ee437d1, v82 :: v_dual_add_f32 v13, v8, v81
	v_fmamk_f32 v81, v52, 0x3eb8f4ab, v89
	v_fmamk_f32 v100, v58, 0xbf7ba420, v11
	v_add_f32_e32 v5, v14, v5
	v_mul_f32_e32 v125, 0x3f3d2fb0, v66
	v_mul_f32_e32 v69, 0xbf2c7751, v69
	v_add_f32_e32 v13, v81, v13
	v_dual_mul_f32 v81, 0x3dbcf732, v66 :: v_dual_add_f32 v80, v90, v80
	v_add_f32_e32 v90, v12, v9
	v_dual_mul_f32 v12, 0x3f7ee86f, v74 :: v_dual_add_f32 v9, v86, v76
	v_add_f32_e32 v5, v5, v7
	s_delay_alu instid0(VALU_DEP_4) | instskip(NEXT) | instid1(VALU_DEP_4)
	v_add_f32_e32 v8, v97, v80
	v_add_f32_e32 v76, v100, v90
	s_delay_alu instid0(VALU_DEP_4) | instskip(NEXT) | instid1(VALU_DEP_4)
	v_fmamk_f32 v80, v59, 0x3dbcf732, v12
	v_dual_fmamk_f32 v6, v51, 0x3f7ee86f, v81 :: v_dual_add_f32 v1, v5, v1
	v_mul_f32_e32 v86, 0xbe8c1d8e, v64
	s_delay_alu instid0(VALU_DEP_3) | instskip(SKIP_1) | instid1(VALU_DEP_4)
	v_dual_mul_f32 v97, 0xbf7ee86f, v67 :: v_dual_add_f32 v14, v80, v76
	v_mul_f32_e32 v76, 0xbf7ba420, v65
	v_dual_add_f32 v4, v39, v6 :: v_dual_add_f32 v1, v1, v3
	s_delay_alu instid0(VALU_DEP_3) | instskip(SKIP_1) | instid1(VALU_DEP_4)
	v_fmamk_f32 v6, v53, 0x3dbcf732, v97
	v_dual_fmac_f32 v94, 0xbf7ee86f, v46 :: v_dual_fmac_f32 v81, 0xbf7ee86f, v51
	v_fmamk_f32 v5, v48, 0x3e3c28d5, v76
	v_mul_f32_e32 v80, 0xbeb8f4ab, v75
	s_delay_alu instid0(VALU_DEP_4) | instskip(NEXT) | instid1(VALU_DEP_4)
	v_add_f32_e32 v6, v38, v6
	v_add_f32_e32 v92, v94, v92
	s_delay_alu instid0(VALU_DEP_4) | instskip(SKIP_2) | instid1(VALU_DEP_4)
	v_dual_fmamk_f32 v140, v56, 0x3f06c442, v136 :: v_dual_add_f32 v3, v5, v4
	v_fmamk_f32 v4, v46, 0xbf763a35, v86
	v_fmamk_f32 v5, v56, 0x3f4c4adb, v10
	v_dual_add_f32 v91, v91, v92 :: v_dual_fmamk_f32 v2, v60, 0x3f6eb680, v80
	v_mul_f32_e32 v90, 0xbf4c4adb, v31
	s_delay_alu instid0(VALU_DEP_3)
	v_dual_add_f32 v4, v4, v3 :: v_dual_add_f32 v3, v5, v13
	v_add_f32_e32 v5, v103, v6
	v_fmamk_f32 v6, v55, 0xbe8c1d8e, v105
	v_mul_f32_e32 v103, 0x3eb8f4ab, v71
	v_mul_f32_e32 v100, 0x3f6eb680, v61
	v_add_f32_e32 v2, v2, v14
	v_fmamk_f32 v7, v30, 0xbf1a4643, v90
	s_delay_alu instid0(VALU_DEP_4) | instskip(NEXT) | instid1(VALU_DEP_4)
	v_dual_add_f32 v5, v6, v5 :: v_dual_fmamk_f32 v6, v57, 0x3f6eb680, v103
	v_fmamk_f32 v14, v47, 0xbeb8f4ab, v100
	v_mul_f32_e32 v131, 0xbf7ee86f, v75
	v_fmamk_f32 v13, v48, 0x3f4c4adb, v113
	s_delay_alu instid0(VALU_DEP_4) | instskip(SKIP_4) | instid1(VALU_DEP_4)
	v_dual_fmac_f32 v136, 0xbf06c442, v56 :: v_dual_add_f32 v5, v6, v5
	v_fmamk_f32 v6, v58, 0x3ee437d1, v108
	v_add_f32_e32 v4, v14, v4
	v_fmac_f32_e32 v88, 0xbf763a35, v51
	v_dual_fmac_f32 v102, 0x3f06c442, v48 :: v_dual_add_f32 v21, v21, v91
	v_dual_add_f32 v5, v6, v5 :: v_dual_fmamk_f32 v6, v59, 0xbf59a7d5, v110
	s_delay_alu instid0(VALU_DEP_3) | instskip(NEXT) | instid1(VALU_DEP_3)
	v_add_f32_e32 v88, v39, v88
	v_dual_fmac_f32 v89, 0xbeb8f4ab, v52 :: v_dual_add_f32 v20, v20, v21
	s_delay_alu instid0(VALU_DEP_3)
	v_dual_mul_f32 v66, 0x3f6eb680, v66 :: v_dual_add_f32 v5, v6, v5
	v_fmamk_f32 v6, v60, 0xbf1a4643, v112
	v_mul_f32_e32 v128, 0xbeb8f4ab, v74
	v_fmamk_f32 v135, v60, 0x3dbcf732, v131
	v_fmac_f32_e32 v18, 0xbf763a35, v56
	v_fma_f32 v15, 0x3f3d2fb0, v55, -v15
	v_dual_add_f32 v6, v6, v5 :: v_dual_fmamk_f32 v5, v56, 0xbf2c7751, v114
	v_dual_add_f32 v2, v7, v2 :: v_dual_fmamk_f32 v7, v49, 0x3f65296c, v106
	;; [unrolled: 1-line block ×3, first 2 shown]
	v_mul_f32_e32 v118, 0xbf65296c, v67
	s_delay_alu instid0(VALU_DEP_3) | instskip(SKIP_3) | instid1(VALU_DEP_4)
	v_dual_mul_f32 v67, 0xbeb8f4ab, v67 :: v_dual_add_f32 v4, v7, v4
	v_fmamk_f32 v7, v50, 0x3f06c442, v107
	v_mul_f32_e32 v64, 0x3ee437d1, v64
	v_mul_f32_e32 v122, 0x3e3c28d5, v70
	v_fmamk_f32 v148, v53, 0x3f6eb680, v67
	v_mul_f32_e32 v70, 0xbf65296c, v70
	v_dual_add_f32 v4, v7, v4 :: v_dual_fmamk_f32 v7, v52, 0xbf4c4adb, v109
	v_mul_f32_e32 v65, 0x3f3d2fb0, v65
	v_dual_mul_f32 v126, 0x3f2c7751, v72 :: v_dual_add_f32 v19, v18, v19
	v_dual_add_f32 v148, v38, v148 :: v_dual_mul_f32 v151, 0x3dbcf732, v61
	s_delay_alu instid0(VALU_DEP_4) | instskip(SKIP_2) | instid1(VALU_DEP_4)
	v_add_f32_e32 v4, v7, v4
	v_fmamk_f32 v7, v51, 0x3f65296c, v111
	v_fmamk_f32 v149, v48, 0x3f2c7751, v65
	v_dual_add_f32 v61, v150, v148 :: v_dual_fmamk_f32 v148, v55, 0x3ee437d1, v70
	s_delay_alu instid0(VALU_DEP_4) | instskip(NEXT) | instid1(VALU_DEP_4)
	v_add_f32_e32 v5, v5, v4
	v_dual_add_f32 v7, v39, v7 :: v_dual_fmamk_f32 v14, v54, 0xbf1a4643, v120
	v_mul_f32_e32 v63, 0xbf1a4643, v63
	s_delay_alu instid0(VALU_DEP_4) | instskip(NEXT) | instid1(VALU_DEP_3)
	v_dual_add_f32 v61, v148, v61 :: v_dual_mul_f32 v124, 0x3f763a35, v71
	v_add_f32_e32 v7, v13, v7
	v_fmamk_f32 v13, v46, 0xbe3c28d5, v115
	v_dual_fmac_f32 v115, 0x3e3c28d5, v46 :: v_dual_add_f32 v88, v102, v88
	v_fmac_f32_e32 v10, 0xbf4c4adb, v56
	v_fmac_f32_e32 v107, 0xbf06c442, v50
	s_delay_alu instid0(VALU_DEP_4)
	v_add_f32_e32 v7, v13, v7
	v_fmamk_f32 v13, v47, 0xbf763a35, v117
	v_fmac_f32_e32 v76, 0xbe3c28d5, v48
	v_mul_f32_e32 v150, 0xbe8c1d8e, v62
	v_mul_f32_e32 v68, 0xbf59a7d5, v68
	v_fma_f32 v96, 0x3ee437d1, v54, -v96
	v_add_f32_e32 v7, v13, v7
	v_fmamk_f32 v13, v49, 0xbf2c7751, v119
	v_fmamk_f32 v148, v49, 0x3f763a35, v150
	v_fmac_f32_e32 v109, 0x3f4c4adb, v52
	v_fma_f32 v23, 0xbf1a4643, v57, -v23
	v_fma_f32 v11, 0xbf7ba420, v58, -v11
	v_add_f32_e32 v7, v13, v7
	v_fmamk_f32 v13, v50, 0x3eb8f4ab, v121
	v_fma_f32 v12, 0x3dbcf732, v59, -v12
	v_fmac_f32_e32 v104, 0xbf65296c, v47
	v_fma_f32 v77, 0x3f3d2fb0, v60, -v77
	v_fma_f32 v20, 0xbe8c1d8e, v53, -v84
	v_add_f32_e32 v7, v13, v7
	v_fmamk_f32 v13, v52, 0x3f7ee86f, v123
	v_fma_f32 v22, 0xbe8c1d8e, v30, -v22
	s_delay_alu instid0(VALU_DEP_4) | instskip(SKIP_1) | instid1(VALU_DEP_4)
	v_dual_fmac_f32 v117, 0x3f763a35, v47 :: v_dual_add_f32 v20, v38, v20
	v_mul_f32_e32 v75, 0xbf06c442, v75
	v_add_f32_e32 v7, v13, v7
	v_fmamk_f32 v13, v51, 0x3f2c7751, v125
	v_fmac_f32_e32 v125, 0xbf2c7751, v51
	v_add_f32_e32 v21, v98, v88
	s_delay_alu instid0(VALU_DEP_4) | instskip(NEXT) | instid1(VALU_DEP_4)
	v_dual_fmamk_f32 v146, v30, 0xbf59a7d5, v141 :: v_dual_add_f32 v7, v140, v7
	v_dual_add_f32 v13, v39, v13 :: v_dual_mul_f32 v140, 0x3f763a35, v74
	s_delay_alu instid0(VALU_DEP_3) | instskip(SKIP_1) | instid1(VALU_DEP_3)
	v_dual_mul_f32 v74, 0xbf4c4adb, v74 :: v_dual_add_f32 v21, v104, v21
	v_fmac_f32_e32 v83, 0xbe3c28d5, v49
	v_add_f32_e32 v13, v129, v13
	v_fmamk_f32 v129, v46, 0x3f4c4adb, v130
	v_fmac_f32_e32 v111, 0xbf65296c, v51
	v_fmac_f32_e32 v113, 0xbf4c4adb, v48
	v_add_f32_e32 v21, v83, v21
	v_fmac_f32_e32 v119, 0x3f2c7751, v49
	v_add_f32_e32 v13, v129, v13
	v_fmac_f32_e32 v106, 0xbf65296c, v49
	v_fmac_f32_e32 v121, 0xbeb8f4ab, v50
	v_add_f32_e32 v21, v87, v21
	v_fmac_f32_e32 v123, 0xbf7ee86f, v52
	v_dual_add_f32 v13, v138, v13 :: v_dual_mul_f32 v138, 0x3f06c442, v72
	s_delay_alu instid0(VALU_DEP_3) | instskip(SKIP_1) | instid1(VALU_DEP_3)
	v_dual_mul_f32 v72, 0xbf763a35, v72 :: v_dual_add_f32 v21, v89, v21
	v_fmac_f32_e32 v139, 0x3f06c442, v49
	v_add_f32_e32 v13, v142, v13
	v_fmamk_f32 v142, v50, 0xbf763a35, v143
	v_fmac_f32_e32 v65, 0xbf2c7751, v48
	s_delay_alu instid0(VALU_DEP_2) | instskip(SKIP_2) | instid1(VALU_DEP_3)
	v_dual_add_f32 v13, v142, v13 :: v_dual_fmamk_f32 v142, v52, 0xbf65296c, v144
	v_mul_f32_e32 v116, 0x3f2c7751, v31
	v_mul_f32_e32 v31, 0xbe3c28d5, v31
	v_add_f32_e32 v13, v142, v13
	s_delay_alu instid0(VALU_DEP_3) | instskip(SKIP_1) | instid1(VALU_DEP_2)
	v_fmamk_f32 v4, v30, 0x3f3d2fb0, v116
	v_fmamk_f32 v142, v51, 0x3eb8f4ab, v66
	v_dual_fmamk_f32 v93, v30, 0xbf7ba420, v31 :: v_dual_add_f32 v4, v4, v6
	s_delay_alu instid0(VALU_DEP_2) | instskip(SKIP_1) | instid1(VALU_DEP_2)
	v_add_f32_e32 v142, v39, v142
	v_fmamk_f32 v6, v53, 0x3ee437d1, v118
	v_dual_add_f32 v142, v149, v142 :: v_dual_fmamk_f32 v149, v46, 0x3f65296c, v64
	s_delay_alu instid0(VALU_DEP_2) | instskip(SKIP_1) | instid1(VALU_DEP_3)
	v_add_f32_e32 v6, v38, v6
	v_fmac_f32_e32 v64, 0xbf65296c, v46
	v_dual_add_f32 v142, v149, v142 :: v_dual_fmamk_f32 v149, v47, 0x3f7ee86f, v151
	s_delay_alu instid0(VALU_DEP_3) | instskip(SKIP_1) | instid1(VALU_DEP_3)
	v_add_f32_e32 v6, v14, v6
	v_fmamk_f32 v14, v55, 0xbf7ba420, v122
	v_dual_fmac_f32 v151, 0xbf7ee86f, v47 :: v_dual_add_f32 v142, v149, v142
	v_fmamk_f32 v149, v30, 0x3f6eb680, v147
	s_delay_alu instid0(VALU_DEP_3)
	v_add_f32_e32 v6, v14, v6
	v_fmac_f32_e32 v66, 0xbeb8f4ab, v51
	v_fmac_f32_e32 v100, 0x3eb8f4ab, v47
	v_add_f32_e32 v142, v148, v142
	v_fmamk_f32 v148, v50, 0x3f4c4adb, v63
	v_fmac_f32_e32 v63, 0xbf4c4adb, v50
	v_fma_f32 v51, 0x3f6eb680, v53, -v67
	s_delay_alu instid0(VALU_DEP_3) | instskip(SKIP_2) | instid1(VALU_DEP_1)
	v_add_f32_e32 v142, v148, v142
	v_fmamk_f32 v148, v52, 0x3f06c442, v68
	v_fmamk_f32 v14, v57, 0xbe8c1d8e, v124
	v_add_f32_e32 v6, v14, v6
	v_fmamk_f32 v14, v58, 0x3f3d2fb0, v126
	v_fmac_f32_e32 v127, 0xbf7ee86f, v48
	v_fma_f32 v48, 0x3f3d2fb0, v54, -v69
	s_delay_alu instid0(VALU_DEP_3) | instskip(SKIP_1) | instid1(VALU_DEP_1)
	v_add_f32_e32 v6, v14, v6
	v_fmamk_f32 v14, v59, 0x3f6eb680, v128
	v_add_f32_e32 v6, v14, v6
	v_fmamk_f32 v14, v53, 0x3f3d2fb0, v132
	v_fmac_f32_e32 v133, 0xbe3c28d5, v47
	v_fma_f32 v47, 0xbe8c1d8e, v59, -v140
	s_delay_alu instid0(VALU_DEP_4) | instskip(NEXT) | instid1(VALU_DEP_4)
	v_add_f32_e32 v6, v135, v6
	v_dual_add_f32 v14, v38, v14 :: v_dual_mul_f32 v135, 0xbe3c28d5, v71
	v_mul_f32_e32 v71, 0xbf7ee86f, v71
	s_delay_alu instid0(VALU_DEP_1) | instskip(NEXT) | instid1(VALU_DEP_1)
	v_dual_fmamk_f32 v129, v54, 0x3dbcf732, v134 :: v_dual_fmamk_f32 v62, v57, 0x3dbcf732, v71
	v_dual_add_f32 v14, v129, v14 :: v_dual_fmamk_f32 v129, v55, 0xbf1a4643, v137
	s_delay_alu instid0(VALU_DEP_2) | instskip(SKIP_1) | instid1(VALU_DEP_3)
	v_add_f32_e32 v61, v62, v61
	v_fmamk_f32 v62, v58, 0xbe8c1d8e, v72
	v_add_f32_e32 v14, v129, v14
	v_fmamk_f32 v129, v57, 0xbf7ba420, v135
	s_delay_alu instid0(VALU_DEP_3) | instskip(NEXT) | instid1(VALU_DEP_2)
	v_dual_add_f32 v61, v62, v61 :: v_dual_fmamk_f32 v62, v59, 0xbf1a4643, v74
	v_dual_add_f32 v14, v129, v14 :: v_dual_fmamk_f32 v129, v58, 0xbf59a7d5, v138
	v_add_f32_e32 v6, v146, v6
	v_mul_f32_e32 v146, 0x3f6eb680, v73
	s_delay_alu instid0(VALU_DEP_4) | instskip(NEXT) | instid1(VALU_DEP_4)
	v_dual_add_f32 v61, v62, v61 :: v_dual_fmamk_f32 v62, v60, 0xbf59a7d5, v75
	v_dual_mul_f32 v73, 0xbf7ba420, v73 :: v_dual_add_f32 v14, v129, v14
	v_fmamk_f32 v129, v59, 0xbe8c1d8e, v140
	v_fmac_f32_e32 v143, 0x3f763a35, v50
	s_delay_alu instid0(VALU_DEP_4) | instskip(SKIP_1) | instid1(VALU_DEP_4)
	v_add_f32_e32 v61, v62, v61
	v_fma_f32 v62, 0xbf59a7d5, v53, -v95
	v_dual_fmamk_f32 v95, v56, 0x3e3c28d5, v73 :: v_dual_add_f32 v14, v129, v14
	v_fmamk_f32 v129, v60, 0x3ee437d1, v145
	s_delay_alu instid0(VALU_DEP_4) | instskip(SKIP_2) | instid1(VALU_DEP_4)
	v_dual_add_f32 v61, v93, v61 :: v_dual_fmac_f32 v130, 0xbf4c4adb, v46
	v_fmac_f32_e32 v86, 0x3f763a35, v46
	v_fmac_f32_e32 v73, 0xbe3c28d5, v56
	v_dual_add_f32 v129, v129, v14 :: v_dual_fmamk_f32 v14, v56, 0xbeb8f4ab, v146
	v_fmac_f32_e32 v114, 0x3f2c7751, v56
	s_delay_alu instid0(VALU_DEP_2) | instskip(NEXT) | instid1(VALU_DEP_3)
	v_add_f32_e32 v14, v14, v13
	v_add_f32_e32 v13, v149, v129
	;; [unrolled: 1-line block ×4, first 2 shown]
	s_delay_alu instid0(VALU_DEP_1) | instskip(SKIP_1) | instid1(VALU_DEP_1)
	v_dual_add_f32 v62, v95, v129 :: v_dual_add_f32 v95, v96, v142
	v_fma_f32 v96, 0x3dbcf732, v55, -v99
	v_add_f32_e32 v93, v96, v95
	s_delay_alu instid0(VALU_DEP_1) | instskip(NEXT) | instid1(VALU_DEP_1)
	v_add_f32_e32 v23, v23, v93
	v_add_f32_e32 v23, v78, v23
	v_fma_f32 v78, 0xbf7ba420, v59, -v79
	s_delay_alu instid0(VALU_DEP_1) | instskip(NEXT) | instid1(VALU_DEP_1)
	v_dual_add_f32 v23, v78, v23 :: v_dual_fmac_f32 v144, 0x3f65296c, v52
	v_add_f32_e32 v23, v77, v23
	v_fma_f32 v77, 0xbf59a7d5, v54, -v85
	v_fmac_f32_e32 v146, 0x3eb8f4ab, v56
	s_delay_alu instid0(VALU_DEP_3) | instskip(NEXT) | instid1(VALU_DEP_3)
	v_add_f32_e32 v18, v22, v23
	v_add_f32_e32 v20, v77, v20
	v_fma_f32 v22, 0x3dbcf732, v53, -v97
	v_add_f32_e32 v23, v39, v81
	v_fma_f32 v77, 0x3dbcf732, v54, -v134
	v_fma_f32 v46, 0x3ee437d1, v55, -v70
	v_add_f32_e32 v15, v15, v20
	v_fma_f32 v20, 0x3ee437d1, v57, -v82
	v_dual_add_f32 v23, v76, v23 :: v_dual_fmac_f32 v150, 0xbf763a35, v49
	v_fma_f32 v76, 0xbf1a4643, v54, -v120
	s_delay_alu instid0(VALU_DEP_3) | instskip(SKIP_1) | instid1(VALU_DEP_2)
	v_dual_add_f32 v15, v20, v15 :: v_dual_add_f32 v20, v38, v22
	v_fma_f32 v22, 0xbf7ba420, v54, -v101
	v_add_f32_e32 v11, v11, v15
	s_delay_alu instid0(VALU_DEP_2) | instskip(SKIP_2) | instid1(VALU_DEP_4)
	v_add_f32_e32 v15, v22, v20
	v_fma_f32 v20, 0xbe8c1d8e, v55, -v105
	v_add_f32_e32 v22, v86, v23
	v_add_f32_e32 v11, v12, v11
	v_fma_f32 v12, 0x3f6eb680, v60, -v80
	v_fma_f32 v23, 0xbf1a4643, v30, -v90
	v_add_f32_e32 v15, v20, v15
	v_fma_f32 v20, 0x3f6eb680, v57, -v103
	v_add_f32_e32 v22, v100, v22
	v_dual_add_f32 v12, v12, v11 :: v_dual_add_f32 v11, v10, v21
	s_delay_alu instid0(VALU_DEP_3) | instskip(SKIP_1) | instid1(VALU_DEP_4)
	v_add_f32_e32 v15, v20, v15
	v_fma_f32 v20, 0x3ee437d1, v58, -v108
	v_add_f32_e32 v22, v106, v22
	s_delay_alu instid0(VALU_DEP_4) | instskip(SKIP_1) | instid1(VALU_DEP_4)
	v_add_f32_e32 v10, v23, v12
	v_fma_f32 v23, 0x3f3d2fb0, v30, -v116
	v_add_f32_e32 v15, v20, v15
	v_fma_f32 v20, 0xbf59a7d5, v59, -v110
	v_add_f32_e32 v21, v107, v22
	v_add_f32_e32 v22, v39, v111
	v_fmac_f32_e32 v68, 0xbf06c442, v52
	s_delay_alu instid0(VALU_DEP_4) | instskip(SKIP_3) | instid1(VALU_DEP_3)
	v_add_f32_e32 v12, v20, v15
	v_fma_f32 v15, 0xbf1a4643, v60, -v112
	v_add_f32_e32 v20, v109, v21
	v_add_f32_e32 v22, v113, v22
	;; [unrolled: 1-line block ×3, first 2 shown]
	s_delay_alu instid0(VALU_DEP_3) | instskip(SKIP_1) | instid1(VALU_DEP_3)
	v_add_f32_e32 v21, v114, v20
	v_fma_f32 v15, 0x3ee437d1, v53, -v118
	v_add_f32_e32 v20, v23, v12
	v_add_f32_e32 v23, v39, v125
	;; [unrolled: 1-line block ×3, first 2 shown]
	s_delay_alu instid0(VALU_DEP_4) | instskip(NEXT) | instid1(VALU_DEP_3)
	v_add_f32_e32 v15, v38, v15
	v_add_f32_e32 v23, v127, v23
	s_delay_alu instid0(VALU_DEP_3) | instskip(NEXT) | instid1(VALU_DEP_3)
	v_add_f32_e32 v39, v65, v39
	v_add_f32_e32 v15, v76, v15
	s_delay_alu instid0(VALU_DEP_2) | instskip(NEXT) | instid1(VALU_DEP_1)
	v_add_f32_e32 v39, v64, v39
	v_add_f32_e32 v39, v151, v39
	;; [unrolled: 1-line block ×3, first 2 shown]
	s_delay_alu instid0(VALU_DEP_2) | instskip(NEXT) | instid1(VALU_DEP_2)
	v_add_f32_e32 v39, v150, v39
	v_add_f32_e32 v23, v133, v23
	s_delay_alu instid0(VALU_DEP_2) | instskip(SKIP_2) | instid1(VALU_DEP_4)
	v_add_f32_e32 v39, v63, v39
	v_add_f32_e32 v12, v115, v22
	v_fma_f32 v22, 0xbf7ba420, v55, -v122
	v_add_f32_e32 v76, v139, v23
	s_delay_alu instid0(VALU_DEP_4) | instskip(NEXT) | instid1(VALU_DEP_3)
	v_add_f32_e32 v39, v68, v39
	v_add_f32_e32 v15, v22, v15
	v_fma_f32 v22, 0xbe8c1d8e, v57, -v124
	s_delay_alu instid0(VALU_DEP_3) | instskip(NEXT) | instid1(VALU_DEP_2)
	v_dual_add_f32 v76, v143, v76 :: v_dual_add_f32 v39, v73, v39
	v_add_f32_e32 v15, v22, v15
	v_fma_f32 v22, 0x3f3d2fb0, v58, -v126
	s_delay_alu instid0(VALU_DEP_1) | instskip(SKIP_1) | instid1(VALU_DEP_1)
	v_add_f32_e32 v15, v22, v15
	v_fma_f32 v22, 0x3f6eb680, v59, -v128
	v_add_f32_e32 v15, v22, v15
	v_fma_f32 v22, 0x3dbcf732, v60, -v131
	s_delay_alu instid0(VALU_DEP_1) | instskip(SKIP_1) | instid1(VALU_DEP_1)
	v_add_f32_e32 v15, v22, v15
	v_fma_f32 v22, 0xbf59a7d5, v30, -v141
	v_dual_add_f32 v22, v22, v15 :: v_dual_add_f32 v15, v144, v76
	v_add_f32_e32 v12, v117, v12
	s_delay_alu instid0(VALU_DEP_1) | instskip(NEXT) | instid1(VALU_DEP_1)
	v_add_f32_e32 v12, v119, v12
	v_add_f32_e32 v12, v121, v12
	s_delay_alu instid0(VALU_DEP_1) | instskip(NEXT) | instid1(VALU_DEP_1)
	v_add_f32_e32 v12, v123, v12
	v_add_f32_e32 v23, v136, v12
	v_fma_f32 v12, 0x3f3d2fb0, v53, -v132
	v_fma_f32 v53, 0xbf1a4643, v55, -v137
	s_delay_alu instid0(VALU_DEP_2) | instskip(SKIP_2) | instid1(VALU_DEP_3)
	v_add_f32_e32 v12, v38, v12
	v_add_f32_e32 v38, v38, v51
	v_fma_f32 v51, 0xbf7ba420, v57, -v135
	v_add_f32_e32 v12, v77, v12
	s_delay_alu instid0(VALU_DEP_3) | instskip(SKIP_1) | instid1(VALU_DEP_3)
	v_add_f32_e32 v38, v48, v38
	v_fma_f32 v48, 0xbf59a7d5, v58, -v138
	v_add_f32_e32 v12, v53, v12
	s_delay_alu instid0(VALU_DEP_3) | instskip(SKIP_1) | instid1(VALU_DEP_3)
	v_add_f32_e32 v38, v46, v38
	v_fma_f32 v46, 0x3dbcf732, v57, -v71
	v_add_f32_e32 v12, v51, v12
	s_delay_alu instid0(VALU_DEP_2) | instskip(SKIP_1) | instid1(VALU_DEP_3)
	v_add_f32_e32 v38, v46, v38
	v_fma_f32 v46, 0xbe8c1d8e, v58, -v72
	v_add_f32_e32 v12, v48, v12
	v_mul_u32_u24_e32 v48, 0x88, v34
	s_delay_alu instid0(VALU_DEP_3) | instskip(SKIP_1) | instid1(VALU_DEP_4)
	v_add_f32_e32 v38, v46, v38
	v_fma_f32 v46, 0xbf1a4643, v59, -v74
	v_add_f32_e32 v12, v47, v12
	v_fma_f32 v47, 0x3ee437d1, v60, -v145
	v_add3_u32 v48, 0, v48, v35
	s_delay_alu instid0(VALU_DEP_4) | instskip(SKIP_1) | instid1(VALU_DEP_4)
	v_add_f32_e32 v38, v46, v38
	v_fma_f32 v46, 0xbf59a7d5, v60, -v75
	v_add_f32_e32 v12, v47, v12
	v_fma_f32 v47, 0x3f6eb680, v30, -v147
	s_delay_alu instid0(VALU_DEP_3) | instskip(SKIP_1) | instid1(VALU_DEP_3)
	v_add_f32_e32 v38, v46, v38
	v_fma_f32 v46, 0xbf7ba420, v30, -v31
	v_dual_add_f32 v31, v146, v15 :: v_dual_add_f32 v30, v47, v12
	s_delay_alu instid0(VALU_DEP_2)
	v_add_f32_e32 v38, v46, v38
	ds_store_2addr_b64 v48, v[0:1], v[61:62] offset1:1
	ds_store_2addr_b64 v48, v[13:14], v[6:7] offset0:2 offset1:3
	ds_store_2addr_b64 v48, v[4:5], v[2:3] offset0:4 offset1:5
	;; [unrolled: 1-line block ×7, first 2 shown]
	ds_store_b64 v48, v[38:39] offset:128
.LBB0_14:
	s_wait_alu 0xfffe
	s_or_b32 exec_lo, exec_lo, s1
	v_add_nc_u16 v2, v34, 34
	v_add_nc_u16 v5, v34, 0x66
	v_subrev_nc_u32_e32 v3, 17, v34
	v_add_nc_u16 v4, v34, 0x44
	v_cmp_gt_u32_e64 s0, 17, v34
	v_dual_mov_b32 v1, 0 :: v_dual_and_b32 v0, 0xff, v2
	v_and_b32_e32 v9, 0xff, v5
	v_add_nc_u16 v6, v34, 0x88
	s_load_b64 s[2:3], s[2:3], 0x0
	s_delay_alu instid0(VALU_DEP_3)
	v_mul_lo_u16 v0, 0xf1, v0
	global_wb scope:SCOPE_SE
	s_wait_dscnt 0x0
	v_mul_lo_u16 v9, 0xf1, v9
	s_wait_kmcnt 0x0
	s_barrier_signal -1
	s_barrier_wait -1
	v_lshrrev_b16 v56, 12, v0
	v_cndmask_b32_e64 v0, v3, v34, s0
	v_and_b32_e32 v3, 0xff, v4
	v_lshrrev_b16 v58, 12, v9
	global_inv scope:SCOPE_SE
	v_mul_lo_u16 v10, v56, 17
	v_add_nc_u16 v7, v34, 0xaa
	v_mul_lo_u16 v13, 0xf1, v3
	v_add_nc_u16 v8, v34, 0xcc
	v_mul_u32_u24_e32 v68, 6, v34
	v_sub_nc_u16 v10, v2, v10
	v_lshlrev_b64_e32 v[2:3], 3, v[0:1]
	v_lshrrev_b16 v57, 12, v13
	v_mul_lo_u16 v13, v58, 17
	s_delay_alu instid0(VALU_DEP_4) | instskip(NEXT) | instid1(VALU_DEP_4)
	v_and_b32_e32 v9, 0xff, v10
	v_add_co_u32 v2, s0, s8, v2
	s_wait_alu 0xf1ff
	v_add_co_ci_u32_e64 v3, s0, s9, v3, s0
	s_delay_alu instid0(VALU_DEP_3)
	v_lshlrev_b32_e32 v59, 3, v9
	v_cmp_lt_u32_e64 s0, 16, v34
	global_load_b64 v[26:27], v[2:3], off
	v_and_b32_e32 v12, 0xff, v7
	global_load_b64 v[28:29], v59, s[8:9]
	v_and_b32_e32 v11, 0xff, v6
	v_and_b32_e32 v14, 0xff, v8
	s_wait_alu 0xf1ff
	v_cndmask_b32_e64 v22, 0, 0x110, s0
	v_mul_lo_u16 v10, 0xf1, v12
	v_mul_lo_u16 v9, 0xf1, v11
	;; [unrolled: 1-line block ×4, first 2 shown]
	s_delay_alu instid0(VALU_DEP_4) | instskip(NEXT) | instid1(VALU_DEP_4)
	v_lshrrev_b16 v61, 12, v10
	v_lshrrev_b16 v60, 12, v9
	s_delay_alu instid0(VALU_DEP_4)
	v_sub_nc_u16 v2, v4, v11
	v_sub_nc_u16 v4, v5, v13
	v_lshrrev_b16 v62, 12, v12
	v_mul_lo_u16 v5, v61, 17
	v_mul_lo_u16 v3, v60, 17
	v_and_b32_e32 v2, 0xff, v2
	v_and_b32_e32 v4, 0xff, v4
	v_mul_lo_u16 v9, v62, 17
	v_sub_nc_u16 v5, v7, v5
	v_sub_nc_u16 v3, v6, v3
	v_lshlrev_b32_e32 v63, 3, v2
	s_delay_alu instid0(VALU_DEP_4)
	v_sub_nc_u16 v6, v8, v9
	global_load_b64 v[30:31], v63, s[8:9]
	v_lshlrev_b32_e32 v64, 3, v4
	global_load_b64 v[38:39], v64, s[8:9]
	v_and_b32_e32 v2, 0xff, v3
	v_and_b32_e32 v3, 0xff, v5
	;; [unrolled: 1-line block ×3, first 2 shown]
	s_delay_alu instid0(VALU_DEP_3) | instskip(NEXT) | instid1(VALU_DEP_3)
	v_lshlrev_b32_e32 v65, 3, v2
	v_lshlrev_b32_e32 v66, 3, v3
	s_delay_alu instid0(VALU_DEP_3)
	v_lshlrev_b32_e32 v67, 3, v4
	s_clause 0x2
	global_load_b64 v[46:47], v65, s[8:9]
	global_load_b64 v[48:49], v66, s[8:9]
	;; [unrolled: 1-line block ×3, first 2 shown]
	ds_load_2addr_b64 v[2:5], v45 offset0:110 offset1:144
	ds_load_2addr_b64 v[6:9], v43 offset0:34 offset1:68
	;; [unrolled: 1-line block ×5, first 2 shown]
	v_add_nc_u32_e32 v69, 0, v22
	ds_load_2addr_b64 v[22:25], v43 offset0:170 offset1:204
	ds_load_b64 v[52:53], v41
	ds_load_b64 v[54:55], v43 offset:3536
	v_lshlrev_b32_e32 v0, 3, v0
	v_and_b32_e32 v57, 0xffff, v57
	v_lshlrev_b32_e32 v68, 3, v68
	global_wb scope:SCOPE_SE
	s_wait_loadcnt_dscnt 0x0
	s_barrier_signal -1
	v_add3_u32 v0, v69, v0, v35
	v_mad_u32_u24 v57, 0x110, v57, 0
	s_barrier_wait -1
	global_inv scope:SCOPE_SE
	v_and_b32_e32 v56, 0xffff, v56
	v_and_b32_e32 v60, 0xffff, v60
	;; [unrolled: 1-line block ×3, first 2 shown]
	s_delay_alu instid0(VALU_DEP_2) | instskip(SKIP_2) | instid1(VALU_DEP_2)
	v_mad_u32_u24 v60, 0x110, v60, 0
	v_mul_f32_e32 v69, v27, v3
	v_mul_f32_e32 v27, v27, v2
	v_fmac_f32_e32 v69, v26, v2
	s_delay_alu instid0(VALU_DEP_2) | instskip(NEXT) | instid1(VALU_DEP_1)
	v_fma_f32 v3, v26, v3, -v27
	v_dual_sub_f32 v2, v52, v69 :: v_dual_sub_f32 v3, v53, v3
	s_delay_alu instid0(VALU_DEP_1) | instskip(SKIP_1) | instid1(VALU_DEP_3)
	v_fma_f32 v26, v52, 2.0, -v2
	v_mul_f32_e32 v52, v29, v5
	v_fma_f32 v27, v53, 2.0, -v3
	v_mul_f32_e32 v29, v29, v4
	s_delay_alu instid0(VALU_DEP_3) | instskip(SKIP_4) | instid1(VALU_DEP_3)
	v_fmac_f32_e32 v52, v28, v4
	ds_store_2addr_b64 v0, v[26:27], v[2:3] offset1:17
	v_fma_f32 v0, v28, v5, -v29
	v_sub_f32_e32 v2, v6, v52
	v_add3_u32 v57, v57, v63, v35
	v_sub_f32_e32 v3, v7, v0
	v_mul_f32_e32 v53, v31, v11
	v_mul_f32_e32 v31, v31, v10
	v_fma_f32 v6, v6, 2.0, -v2
	s_delay_alu instid0(VALU_DEP_4) | instskip(NEXT) | instid1(VALU_DEP_4)
	v_fma_f32 v7, v7, 2.0, -v3
	v_fmac_f32_e32 v53, v30, v10
	s_delay_alu instid0(VALU_DEP_4) | instskip(NEXT) | instid1(VALU_DEP_2)
	v_fma_f32 v5, v30, v11, -v31
	v_sub_f32_e32 v4, v8, v53
	s_delay_alu instid0(VALU_DEP_2) | instskip(NEXT) | instid1(VALU_DEP_2)
	v_sub_f32_e32 v5, v9, v5
	v_fma_f32 v8, v8, 2.0, -v4
	v_mul_f32_e32 v63, v21, v49
	v_mul_f32_e32 v49, v20, v49
	v_mad_u32_u24 v56, 0x110, v56, 0
	v_fma_f32 v9, v9, 2.0, -v5
	s_delay_alu instid0(VALU_DEP_4) | instskip(SKIP_1) | instid1(VALU_DEP_4)
	v_fmac_f32_e32 v63, v20, v48
	v_and_b32_e32 v61, 0xffff, v61
	v_add3_u32 v56, v56, v59, v35
	v_add3_u32 v59, v60, v65, v35
	s_delay_alu instid0(VALU_DEP_3) | instskip(NEXT) | instid1(VALU_DEP_1)
	v_mad_u32_u24 v61, 0x110, v61, 0
	v_add3_u32 v60, v61, v66, v35
	v_dual_mul_f32 v61, v39, v13 :: v_dual_and_b32 v62, 0xffff, v62
	v_mul_f32_e32 v39, v39, v12
	v_mad_u32_u24 v58, 0x110, v58, 0
	s_delay_alu instid0(VALU_DEP_3) | instskip(NEXT) | instid1(VALU_DEP_4)
	v_fmac_f32_e32 v61, v38, v12
	v_mad_u32_u24 v62, 0x110, v62, 0
	s_delay_alu instid0(VALU_DEP_4) | instskip(NEXT) | instid1(VALU_DEP_4)
	v_fma_f32 v11, v38, v13, -v39
	v_add3_u32 v58, v58, v64, v35
	v_mul_f32_e32 v64, v55, v51
	v_mul_f32_e32 v51, v54, v51
	s_delay_alu instid0(VALU_DEP_4) | instskip(NEXT) | instid1(VALU_DEP_3)
	v_dual_sub_f32 v10, v14, v61 :: v_dual_sub_f32 v11, v15, v11
	v_fmac_f32_e32 v64, v54, v50
	v_add3_u32 v35, v62, v67, v35
	v_mul_f32_e32 v62, v19, v47
	v_mul_f32_e32 v47, v18, v47
	v_fma_f32 v14, v14, 2.0, -v10
	v_sub_f32_e32 v20, v24, v64
	v_fma_f32 v15, v15, 2.0, -v11
	v_fmac_f32_e32 v62, v18, v46
	v_fma_f32 v13, v19, v46, -v47
	v_fma_f32 v19, v21, v48, -v49
	;; [unrolled: 1-line block ×3, first 2 shown]
	v_sub_f32_e32 v18, v22, v63
	s_delay_alu instid0(VALU_DEP_4) | instskip(NEXT) | instid1(VALU_DEP_4)
	v_dual_sub_f32 v12, v16, v62 :: v_dual_sub_f32 v13, v17, v13
	v_sub_f32_e32 v19, v23, v19
	s_delay_alu instid0(VALU_DEP_4) | instskip(NEXT) | instid1(VALU_DEP_4)
	v_sub_f32_e32 v21, v25, v21
	v_fma_f32 v22, v22, 2.0, -v18
	s_delay_alu instid0(VALU_DEP_4)
	v_fma_f32 v16, v16, 2.0, -v12
	v_fma_f32 v17, v17, 2.0, -v13
	;; [unrolled: 1-line block ×5, first 2 shown]
	ds_store_2addr_b64 v56, v[6:7], v[2:3] offset1:17
	ds_store_2addr_b64 v57, v[8:9], v[4:5] offset1:17
	;; [unrolled: 1-line block ×6, first 2 shown]
	global_wb scope:SCOPE_SE
	s_wait_dscnt 0x0
	s_barrier_signal -1
	s_barrier_wait -1
	global_inv scope:SCOPE_SE
	s_clause 0x2
	global_load_b128 v[4:7], v68, s[8:9] offset:136
	global_load_b128 v[8:11], v68, s[8:9] offset:152
	;; [unrolled: 1-line block ×3, first 2 shown]
	ds_load_2addr_b64 v[16:19], v43 offset0:34 offset1:68
	ds_load_2addr_b64 v[20:23], v43 offset0:102 offset1:136
	;; [unrolled: 1-line block ×6, first 2 shown]
	ds_load_b64 v[38:39], v41
	ds_load_b64 v[54:55], v43 offset:3536
	v_mov_b32_e32 v35, v1
	global_wb scope:SCOPE_SE
	s_wait_loadcnt_dscnt 0x0
	s_barrier_signal -1
	s_barrier_wait -1
	global_inv scope:SCOPE_SE
	v_mul_f32_e32 v56, v5, v18
	v_mul_f32_e32 v70, v47, v11
	v_lshlrev_b64_e32 v[0:1], 3, v[34:35]
	v_dual_mul_f32 v35, v5, v19 :: v_dual_mul_f32 v58, v7, v22
	v_mul_f32_e32 v60, v9, v26
	s_delay_alu instid0(VALU_DEP_4)
	v_fmac_f32_e32 v70, v46, v10
	v_dual_mul_f32 v62, v11, v30 :: v_dual_mul_f32 v63, v13, v49
	v_mul_f32_e32 v72, v55, v15
	v_mul_f32_e32 v57, v7, v23
	;; [unrolled: 1-line block ×3, first 2 shown]
	v_fmac_f32_e32 v35, v4, v18
	v_fma_f32 v18, v4, v19, -v56
	v_fma_f32 v19, v6, v23, -v58
	;; [unrolled: 1-line block ×3, first 2 shown]
	v_fmac_f32_e32 v72, v54, v14
	v_fmac_f32_e32 v57, v6, v22
	v_fma_f32 v22, v8, v27, -v60
	v_mul_f32_e32 v67, v21, v5
	v_dual_mul_f32 v5, v20, v5 :: v_dual_mul_f32 v68, v25, v7
	v_fmac_f32_e32 v65, v52, v14
	v_mul_f32_e32 v59, v9, v27
	v_mul_f32_e32 v7, v24, v7
	v_fmac_f32_e32 v67, v20, v4
	v_mul_f32_e32 v69, v29, v9
	v_fma_f32 v4, v21, v4, -v5
	v_dual_add_f32 v21, v22, v23 :: v_dual_sub_f32 v22, v23, v22
	v_fmac_f32_e32 v63, v12, v48
	v_mul_f32_e32 v9, v28, v9
	v_mul_f32_e32 v66, v52, v15
	v_fmac_f32_e32 v68, v24, v6
	v_fma_f32 v5, v25, v6, -v7
	v_mul_f32_e32 v64, v13, v48
	v_fma_f32 v6, v29, v8, -v9
	v_mul_f32_e32 v15, v54, v15
	v_fma_f32 v27, v53, v14, -v66
	v_add_co_u32 v2, s0, s8, v0
	s_wait_alu 0xf1ff
	v_add_co_ci_u32_e64 v3, s0, s9, v1, s0
	v_fma_f32 v9, v55, v14, -v15
	v_mul_f32_e32 v61, v11, v31
	v_mul_f32_e32 v11, v46, v11
	v_cmp_ne_u32_e64 s0, 0, v34
	s_delay_alu instid0(VALU_DEP_4) | instskip(NEXT) | instid1(VALU_DEP_4)
	v_add_f32_e32 v25, v4, v9
	v_dual_sub_f32 v4, v4, v9 :: v_dual_fmac_f32 v61, v10, v30
	s_delay_alu instid0(VALU_DEP_4) | instskip(SKIP_3) | instid1(VALU_DEP_4)
	v_fma_f32 v7, v47, v10, -v11
	v_dual_add_f32 v10, v35, v65 :: v_dual_add_f32 v11, v18, v27
	v_fmac_f32_e32 v59, v8, v26
	v_fma_f32 v26, v12, v49, -v64
	v_dual_add_f32 v29, v6, v7 :: v_dual_sub_f32 v6, v7, v6
	s_delay_alu instid0(VALU_DEP_2) | instskip(SKIP_2) | instid1(VALU_DEP_3)
	v_add_f32_e32 v15, v19, v26
	v_sub_f32_e32 v19, v19, v26
	v_sub_f32_e32 v26, v67, v72
	v_dual_fmac_f32 v69, v28, v8 :: v_dual_sub_f32 v46, v15, v11
	s_delay_alu instid0(VALU_DEP_3) | instskip(SKIP_1) | instid1(VALU_DEP_1)
	v_dual_add_f32 v48, v22, v19 :: v_dual_mul_f32 v71, v51, v13
	v_dual_mul_f32 v13, v50, v13 :: v_dual_sub_f32 v24, v61, v59
	v_fma_f32 v8, v51, v12, -v13
	v_sub_f32_e32 v13, v18, v27
	s_delay_alu instid0(VALU_DEP_4) | instskip(NEXT) | instid1(VALU_DEP_1)
	v_dual_sub_f32 v18, v57, v63 :: v_dual_fmac_f32 v71, v50, v12
	v_add_f32_e32 v47, v24, v18
	s_delay_alu instid0(VALU_DEP_2) | instskip(SKIP_1) | instid1(VALU_DEP_1)
	v_sub_f32_e32 v28, v68, v71
	v_dual_add_f32 v14, v57, v63 :: v_dual_sub_f32 v49, v24, v18
	v_add_f32_e32 v7, v14, v10
	v_add_f32_e32 v27, v5, v8
	s_delay_alu instid0(VALU_DEP_1) | instskip(NEXT) | instid1(VALU_DEP_1)
	v_dual_sub_f32 v5, v5, v8 :: v_dual_sub_f32 v54, v27, v25
	v_add_f32_e32 v56, v6, v5
	v_sub_f32_e32 v50, v22, v19
	v_sub_f32_e32 v22, v13, v22
	v_sub_f32_e32 v30, v70, v69
	v_dual_sub_f32 v12, v35, v65 :: v_dual_sub_f32 v35, v14, v10
	v_dual_add_f32 v23, v67, v72 :: v_dual_sub_f32 v58, v6, v5
	v_add_f32_e32 v8, v69, v70
	s_delay_alu instid0(VALU_DEP_3) | instskip(SKIP_3) | instid1(VALU_DEP_3)
	v_sub_f32_e32 v24, v12, v24
	v_add_f32_e32 v20, v59, v61
	v_sub_f32_e32 v18, v18, v12
	v_dual_add_f32 v12, v47, v12 :: v_dual_sub_f32 v59, v4, v6
	v_dual_mul_f32 v47, 0x3f08b237, v50 :: v_dual_sub_f32 v10, v10, v20
	v_dual_sub_f32 v14, v20, v14 :: v_dual_sub_f32 v19, v19, v13
	v_add_f32_e32 v13, v48, v13
	s_delay_alu instid0(VALU_DEP_3) | instskip(SKIP_3) | instid1(VALU_DEP_3)
	v_dual_add_f32 v55, v30, v28 :: v_dual_mul_f32 v6, 0x3f4a47b2, v10
	v_dual_add_f32 v9, v68, v71 :: v_dual_sub_f32 v60, v5, v4
	v_sub_f32_e32 v57, v30, v28
	v_sub_f32_e32 v30, v26, v30
	v_dual_sub_f32 v28, v28, v26 :: v_dual_add_f32 v51, v9, v23
	v_sub_f32_e32 v53, v9, v23
	v_sub_f32_e32 v23, v23, v8
	v_dual_sub_f32 v9, v8, v9 :: v_dual_mul_f32 v10, 0x3d64c772, v14
	s_delay_alu instid0(VALU_DEP_4)
	v_add_f32_e32 v8, v8, v51
	v_add_f32_e32 v20, v20, v7
	v_add_f32_e32 v52, v27, v25
	v_add_f32_e32 v31, v15, v11
	v_dual_sub_f32 v11, v11, v21 :: v_dual_mul_f32 v48, 0xbf5ff5aa, v18
	v_dual_sub_f32 v25, v25, v29 :: v_dual_add_f32 v50, v56, v4
	v_dual_add_f32 v4, v20, v38 :: v_dual_sub_f32 v15, v21, v15
	v_dual_add_f32 v26, v55, v26 :: v_dual_sub_f32 v27, v29, v27
	v_dual_add_f32 v21, v21, v31 :: v_dual_mul_f32 v56, 0x3f08b237, v58
	v_mul_f32_e32 v58, 0xbf5ff5aa, v60
	v_fmamk_f32 v14, v14, 0x3d64c772, v6
	v_fma_f32 v10, 0x3f3bfb3b, v35, -v10
	v_fma_f32 v35, 0xbf3bfb3b, v35, -v6
	v_add_f32_e32 v6, v8, v16
	v_add_f32_e32 v29, v29, v52
	v_mul_f32_e32 v25, 0x3f4a47b2, v25
	v_fmamk_f32 v20, v20, 0xbf955555, v4
	v_mul_f32_e32 v7, 0x3f4a47b2, v11
	v_mul_f32_e32 v31, 0x3f08b237, v49
	;; [unrolled: 1-line block ×3, first 2 shown]
	v_dual_add_f32 v5, v21, v39 :: v_dual_fmamk_f32 v16, v27, 0x3d64c772, v25
	v_mul_f32_e32 v51, 0x3d64c772, v9
	v_fmamk_f32 v15, v15, 0x3d64c772, v7
	v_fma_f32 v38, 0xbf3bfb3b, v46, -v7
	v_fmamk_f32 v39, v24, 0xbeae86e6, v31
	v_fma_f32 v18, 0xbf5ff5aa, v18, -v31
	v_fma_f32 v24, 0x3eae86e6, v24, -v48
	;; [unrolled: 1-line block ×3, first 2 shown]
	v_dual_fmamk_f32 v8, v8, 0xbf955555, v6 :: v_dual_add_f32 v7, v29, v17
	v_fma_f32 v11, 0x3f3bfb3b, v46, -v11
	v_fma_f32 v17, 0x3f3bfb3b, v53, -v51
	s_delay_alu instid0(VALU_DEP_4)
	v_fmac_f32_e32 v48, 0xbee1c552, v50
	v_mul_f32_e32 v49, 0xbf5ff5aa, v19
	v_fmac_f32_e32 v39, 0xbee1c552, v12
	v_fmac_f32_e32 v18, 0xbee1c552, v12
	;; [unrolled: 1-line block ×3, first 2 shown]
	v_fmamk_f32 v21, v21, 0xbf955555, v5
	v_fmamk_f32 v12, v29, 0xbf955555, v7
	v_mul_f32_e32 v52, 0x3d64c772, v27
	v_fma_f32 v25, 0xbf3bfb3b, v54, -v25
	s_delay_alu instid0(VALU_DEP_4)
	v_add_f32_e32 v29, v15, v21
	v_add_f32_e32 v15, v11, v21
	v_dual_add_f32 v21, v38, v21 :: v_dual_add_f32 v38, v16, v12
	v_fmamk_f32 v46, v22, 0xbeae86e6, v47
	v_mul_f32_e32 v23, 0x3f4a47b2, v23
	v_fma_f32 v19, 0xbf5ff5aa, v19, -v47
	v_fma_f32 v22, 0x3eae86e6, v22, -v49
	v_fmamk_f32 v47, v59, 0xbeae86e6, v56
	v_fma_f32 v27, 0x3f3bfb3b, v54, -v52
	v_fma_f32 v49, 0x3eae86e6, v59, -v58
	v_add_f32_e32 v52, v25, v12
	s_delay_alu instid0(VALU_DEP_4)
	v_dual_fmac_f32 v22, 0xbee1c552, v13 :: v_dual_fmac_f32 v47, 0xbee1c552, v50
	v_fmamk_f32 v9, v9, 0x3d64c772, v23
	v_fma_f32 v23, 0xbf3bfb3b, v53, -v23
	v_fmac_f32_e32 v19, 0xbee1c552, v13
	v_mul_f32_e32 v55, 0x3f08b237, v57
	v_mul_f32_e32 v57, 0xbf5ff5aa, v28
	v_fmac_f32_e32 v49, 0xbee1c552, v50
	v_dual_add_f32 v51, v23, v8 :: v_dual_fmac_f32 v46, 0xbee1c552, v13
	s_delay_alu instid0(VALU_DEP_4) | instskip(SKIP_3) | instid1(VALU_DEP_4)
	v_fmamk_f32 v31, v30, 0xbeae86e6, v55
	v_fma_f32 v28, 0xbf5ff5aa, v28, -v55
	v_fma_f32 v30, 0x3eae86e6, v30, -v57
	v_add_f32_e32 v27, v27, v12
	v_dual_add_f32 v50, v17, v8 :: v_dual_fmac_f32 v31, 0xbee1c552, v26
	s_delay_alu instid0(VALU_DEP_4) | instskip(NEXT) | instid1(VALU_DEP_4)
	v_fmac_f32_e32 v28, 0xbee1c552, v26
	v_fmac_f32_e32 v30, 0xbee1c552, v26
	v_add_f32_e32 v26, v14, v20
	v_add_f32_e32 v14, v10, v20
	;; [unrolled: 1-line block ×4, first 2 shown]
	s_delay_alu instid0(VALU_DEP_4) | instskip(SKIP_1) | instid1(VALU_DEP_4)
	v_dual_sub_f32 v9, v29, v39 :: v_dual_add_f32 v8, v46, v26
	v_sub_f32_e32 v11, v21, v24
	v_add_f32_e32 v10, v22, v20
	v_sub_f32_e32 v12, v14, v19
	v_dual_add_f32 v13, v18, v15 :: v_dual_add_f32 v14, v19, v14
	v_sub_f32_e32 v15, v15, v18
	v_sub_f32_e32 v16, v20, v22
	v_dual_add_f32 v17, v24, v21 :: v_dual_sub_f32 v18, v26, v46
	v_add_f32_e32 v19, v39, v29
	v_add_f32_e32 v20, v47, v35
	v_dual_add_f32 v22, v49, v51 :: v_dual_sub_f32 v23, v52, v30
	v_add_f32_e32 v25, v28, v27
	v_sub_f32_e32 v27, v27, v28
	v_dual_sub_f32 v28, v51, v49 :: v_dual_sub_f32 v21, v38, v31
	v_dual_add_f32 v29, v30, v52 :: v_dual_sub_f32 v30, v35, v47
	v_dual_add_f32 v31, v31, v38 :: v_dual_sub_f32 v24, v50, v48
	v_add_f32_e32 v26, v48, v50
	ds_store_2addr_b64 v43, v[4:5], v[8:9] offset1:34
	ds_store_2addr_b64 v43, v[10:11], v[12:13] offset0:68 offset1:102
	ds_store_2addr_b64 v43, v[14:15], v[16:17] offset0:136 offset1:170
	;; [unrolled: 1-line block ×6, first 2 shown]
	global_wb scope:SCOPE_SE
	s_wait_dscnt 0x0
	s_barrier_signal -1
	s_barrier_wait -1
	global_inv scope:SCOPE_SE
	s_clause 0x6
	global_load_b64 v[28:29], v[2:3], off offset:1768
	global_load_b64 v[30:31], v[2:3], off offset:2040
	;; [unrolled: 1-line block ×7, first 2 shown]
	ds_load_2addr_b64 v[4:7], v45 offset0:110 offset1:144
	ds_load_2addr_b64 v[8:11], v44 offset0:50 offset1:84
	ds_load_2addr_b64 v[12:15], v44 offset0:118 offset1:152
	ds_load_b64 v[54:55], v41
	ds_load_b64 v[56:57], v43 offset:3536
	ds_load_2addr_b64 v[16:19], v43 offset0:34 offset1:68
	ds_load_2addr_b64 v[20:23], v43 offset0:102 offset1:136
	;; [unrolled: 1-line block ×3, first 2 shown]
	global_wb scope:SCOPE_SE
	s_wait_loadcnt_dscnt 0x0
	s_barrier_signal -1
	s_barrier_wait -1
	global_inv scope:SCOPE_SE
	v_mul_f32_e32 v35, v29, v5
	v_mul_f32_e32 v29, v29, v4
	;; [unrolled: 1-line block ×7, first 2 shown]
	v_dual_mul_f32 v47, v47, v10 :: v_dual_mul_f32 v60, v49, v13
	v_mul_f32_e32 v49, v49, v12
	v_mul_f32_e32 v61, v15, v51
	v_dual_mul_f32 v51, v14, v51 :: v_dual_mul_f32 v62, v57, v53
	v_mul_f32_e32 v53, v56, v53
	v_fmac_f32_e32 v35, v28, v4
	v_fma_f32 v5, v28, v5, -v29
	v_fmac_f32_e32 v45, v30, v6
	v_fma_f32 v7, v30, v7, -v31
	;; [unrolled: 2-line block ×7, first 2 shown]
	v_dual_sub_f32 v4, v54, v35 :: v_dual_sub_f32 v5, v55, v5
	v_sub_f32_e32 v6, v16, v45
	s_delay_alu instid0(VALU_DEP_4)
	v_dual_sub_f32 v28, v26, v62 :: v_dual_sub_f32 v7, v17, v7
	v_dual_sub_f32 v8, v18, v58 :: v_dual_sub_f32 v9, v19, v9
	v_sub_f32_e32 v10, v20, v59
	v_dual_sub_f32 v11, v21, v11 :: v_dual_sub_f32 v12, v22, v60
	v_sub_f32_e32 v13, v23, v13
	;; [unrolled: 2-line block ×3, first 2 shown]
	v_fma_f32 v30, v54, 2.0, -v4
	v_fma_f32 v31, v55, 2.0, -v5
	;; [unrolled: 1-line block ×14, first 2 shown]
	ds_store_2addr_b64 v44, v[6:7], v[8:9] offset0:16 offset1:50
	ds_store_2addr_b64 v44, v[10:11], v[12:13] offset0:84 offset1:118
	;; [unrolled: 1-line block ×3, first 2 shown]
	ds_store_2addr_b64 v43, v[30:31], v[16:17] offset1:34
	ds_store_2addr_b64 v43, v[18:19], v[20:21] offset0:68 offset1:102
	ds_store_2addr_b64 v43, v[22:23], v[24:25] offset0:136 offset1:170
	ds_store_2addr_b64 v43, v[26:27], v[4:5] offset0:204 offset1:238
	global_wb scope:SCOPE_SE
	s_wait_dscnt 0x0
	s_barrier_signal -1
	s_barrier_wait -1
	global_inv scope:SCOPE_SE
	ds_load_b64 v[6:7], v41
	v_sub_nc_u32_e32 v8, v40, v42
                                        ; implicit-def: $vgpr4
                                        ; implicit-def: $vgpr9
                                        ; implicit-def: $vgpr10
	s_and_saveexec_b32 s1, s0
	s_wait_alu 0xfffe
	s_xor_b32 s0, exec_lo, s1
	s_cbranch_execz .LBB0_16
; %bb.15:
	global_load_b64 v[2:3], v[2:3], off offset:3672
	ds_load_b64 v[4:5], v8 offset:3808
	s_wait_dscnt 0x0
	v_dual_sub_f32 v9, v6, v4 :: v_dual_add_f32 v10, v5, v7
	v_dual_sub_f32 v5, v7, v5 :: v_dual_add_f32 v4, v4, v6
	s_delay_alu instid0(VALU_DEP_2) | instskip(SKIP_1) | instid1(VALU_DEP_1)
	v_dual_mul_f32 v7, 0.5, v9 :: v_dual_mul_f32 v6, 0.5, v10
	s_wait_loadcnt 0x0
	v_dual_mul_f32 v5, 0.5, v5 :: v_dual_mul_f32 v10, v3, v7
	s_delay_alu instid0(VALU_DEP_1) | instskip(SKIP_1) | instid1(VALU_DEP_3)
	v_fma_f32 v11, v6, v3, v5
	v_fma_f32 v3, v6, v3, -v5
	v_fma_f32 v9, 0.5, v4, v10
	v_fma_f32 v4, v4, 0.5, -v10
	s_delay_alu instid0(VALU_DEP_4) | instskip(NEXT) | instid1(VALU_DEP_4)
	v_fma_f32 v10, -v2, v7, v11
	v_fma_f32 v5, -v2, v7, v3
	s_delay_alu instid0(VALU_DEP_4) | instskip(NEXT) | instid1(VALU_DEP_4)
	v_fmac_f32_e32 v9, v2, v6
	v_fma_f32 v4, -v2, v6, v4
                                        ; implicit-def: $vgpr6_vgpr7
.LBB0_16:
	s_wait_alu 0xfffe
	s_and_not1_saveexec_b32 s0, s0
	s_cbranch_execz .LBB0_18
; %bb.17:
	ds_load_b32 v2, v40 offset:1908
	s_wait_dscnt 0x1
	v_dual_add_f32 v9, v6, v7 :: v_dual_mov_b32 v10, 0
	v_dual_sub_f32 v4, v6, v7 :: v_dual_mov_b32 v5, 0
	s_wait_dscnt 0x0
	v_xor_b32_e32 v2, 0x80000000, v2
	ds_store_b32 v40, v2 offset:1908
.LBB0_18:
	s_wait_alu 0xfffe
	s_or_b32 exec_lo, exec_lo, s0
	s_add_nc_u64 s[0:1], s[8:9], 0xe58
	s_wait_alu 0xfffe
	v_add_co_u32 v0, s0, s0, v0
	s_wait_alu 0xf1ff
	v_add_co_ci_u32_e64 v1, s0, s1, v1, s0
	global_load_b64 v[2:3], v[0:1], off offset:272
	s_wait_dscnt 0x0
	s_clause 0x4
	global_load_b64 v[6:7], v[0:1], off offset:544
	global_load_b64 v[11:12], v[0:1], off offset:816
	;; [unrolled: 1-line block ×5, first 2 shown]
	ds_store_2addr_b32 v41, v9, v10 offset1:1
	ds_store_b64 v8, v[4:5] offset:3808
	ds_load_b64 v[4:5], v41 offset:272
	ds_load_b64 v[9:10], v8 offset:3536
	s_wait_dscnt 0x0
	v_dual_sub_f32 v17, v4, v9 :: v_dual_add_f32 v18, v5, v10
	v_dual_sub_f32 v5, v5, v10 :: v_dual_add_f32 v4, v4, v9
	s_delay_alu instid0(VALU_DEP_2) | instskip(NEXT) | instid1(VALU_DEP_2)
	v_dual_mul_f32 v10, 0.5, v17 :: v_dual_mul_f32 v17, 0.5, v18
	v_mul_f32_e32 v5, 0.5, v5
	s_wait_loadcnt 0x5
	s_delay_alu instid0(VALU_DEP_2) | instskip(NEXT) | instid1(VALU_DEP_2)
	v_mul_f32_e32 v9, v3, v10
	v_fma_f32 v18, v17, v3, v5
	v_fma_f32 v3, v17, v3, -v5
	s_delay_alu instid0(VALU_DEP_3) | instskip(SKIP_1) | instid1(VALU_DEP_4)
	v_fma_f32 v5, 0.5, v4, v9
	v_fma_f32 v4, v4, 0.5, -v9
	v_fma_f32 v9, -v2, v10, v18
	s_delay_alu instid0(VALU_DEP_4) | instskip(NEXT) | instid1(VALU_DEP_4)
	v_fma_f32 v3, -v2, v10, v3
	v_fmac_f32_e32 v5, v2, v17
	s_delay_alu instid0(VALU_DEP_4)
	v_fma_f32 v2, -v2, v17, v4
	ds_store_2addr_b32 v41, v5, v9 offset0:68 offset1:69
	ds_store_b64 v8, v[2:3] offset:3536
	ds_load_b64 v[2:3], v41 offset:544
	ds_load_b64 v[4:5], v8 offset:3264
	s_wait_dscnt 0x0
	v_dual_sub_f32 v9, v2, v4 :: v_dual_add_f32 v10, v3, v5
	v_dual_sub_f32 v3, v3, v5 :: v_dual_add_f32 v2, v2, v4
	s_delay_alu instid0(VALU_DEP_2) | instskip(NEXT) | instid1(VALU_DEP_3)
	v_mul_f32_e32 v5, 0.5, v9
	v_mul_f32_e32 v9, 0.5, v10
	s_wait_loadcnt 0x4
	s_delay_alu instid0(VALU_DEP_2) | instskip(NEXT) | instid1(VALU_DEP_1)
	v_dual_mul_f32 v3, 0.5, v3 :: v_dual_mul_f32 v4, v7, v5
	v_fma_f32 v10, v9, v7, v3
	v_fma_f32 v3, v9, v7, -v3
	s_delay_alu instid0(VALU_DEP_3) | instskip(SKIP_1) | instid1(VALU_DEP_4)
	v_fma_f32 v7, 0.5, v2, v4
	v_fma_f32 v2, v2, 0.5, -v4
	v_fma_f32 v4, -v6, v5, v10
	s_delay_alu instid0(VALU_DEP_4)
	v_fma_f32 v3, -v6, v5, v3
	v_add_nc_u32_e32 v10, 0x400, v41
	v_fmac_f32_e32 v7, v6, v9
	v_fma_f32 v2, -v6, v9, v2
	ds_store_2addr_b32 v41, v7, v4 offset0:136 offset1:137
	ds_store_b64 v8, v[2:3] offset:3264
	ds_load_b64 v[2:3], v41 offset:816
	ds_load_b64 v[4:5], v8 offset:2992
	s_wait_dscnt 0x0
	v_dual_sub_f32 v6, v2, v4 :: v_dual_add_f32 v7, v3, v5
	v_dual_sub_f32 v3, v3, v5 :: v_dual_add_f32 v2, v2, v4
	s_delay_alu instid0(VALU_DEP_2) | instskip(SKIP_1) | instid1(VALU_DEP_1)
	v_dual_mul_f32 v5, 0.5, v6 :: v_dual_mul_f32 v6, 0.5, v7
	s_wait_loadcnt 0x3
	v_dual_mul_f32 v3, 0.5, v3 :: v_dual_mul_f32 v4, v12, v5
	s_delay_alu instid0(VALU_DEP_1) | instskip(SKIP_1) | instid1(VALU_DEP_3)
	v_fma_f32 v7, v6, v12, v3
	v_fma_f32 v3, v6, v12, -v3
	v_fma_f32 v9, 0.5, v2, v4
	v_fma_f32 v2, v2, 0.5, -v4
	s_delay_alu instid0(VALU_DEP_4) | instskip(NEXT) | instid1(VALU_DEP_4)
	v_fma_f32 v4, -v11, v5, v7
	v_fma_f32 v3, -v11, v5, v3
	s_delay_alu instid0(VALU_DEP_4) | instskip(NEXT) | instid1(VALU_DEP_4)
	v_fmac_f32_e32 v9, v11, v6
	v_fma_f32 v2, -v11, v6, v2
	ds_store_2addr_b32 v41, v9, v4 offset0:204 offset1:205
	ds_store_b64 v8, v[2:3] offset:2992
	ds_load_b64 v[2:3], v41 offset:1088
	ds_load_b64 v[4:5], v8 offset:2720
	s_wait_dscnt 0x0
	v_dual_sub_f32 v6, v2, v4 :: v_dual_add_f32 v7, v3, v5
	v_dual_sub_f32 v3, v3, v5 :: v_dual_add_f32 v2, v2, v4
	s_delay_alu instid0(VALU_DEP_2) | instskip(SKIP_1) | instid1(VALU_DEP_1)
	v_dual_mul_f32 v5, 0.5, v6 :: v_dual_mul_f32 v6, 0.5, v7
	s_wait_loadcnt 0x2
	v_dual_mul_f32 v3, 0.5, v3 :: v_dual_mul_f32 v4, v14, v5
	s_delay_alu instid0(VALU_DEP_1) | instskip(SKIP_1) | instid1(VALU_DEP_3)
	v_fma_f32 v7, v6, v14, v3
	v_fma_f32 v3, v6, v14, -v3
	v_fma_f32 v9, 0.5, v2, v4
	v_fma_f32 v2, v2, 0.5, -v4
	s_delay_alu instid0(VALU_DEP_4) | instskip(NEXT) | instid1(VALU_DEP_4)
	v_fma_f32 v4, -v13, v5, v7
	v_fma_f32 v3, -v13, v5, v3
	s_delay_alu instid0(VALU_DEP_4) | instskip(NEXT) | instid1(VALU_DEP_4)
	;; [unrolled: 22-line block ×4, first 2 shown]
	v_fmac_f32_e32 v3, v0, v6
	v_fma_f32 v0, -v0, v6, v2
	ds_store_2addr_b32 v10, v3, v4 offset0:152 offset1:153
	ds_store_b64 v8, v[0:1] offset:2176
	global_wb scope:SCOPE_SE
	s_wait_dscnt 0x0
	s_barrier_signal -1
	s_barrier_wait -1
	global_inv scope:SCOPE_SE
	s_and_saveexec_b32 s0, vcc_lo
	s_cbranch_execz .LBB0_21
; %bb.19:
	v_mul_lo_u32 v3, s3, v36
	v_mul_lo_u32 v4, s2, v37
	v_mad_co_u64_u32 v[0:1], null, s2, v36, 0
	v_mov_b32_e32 v35, 0
	v_lshlrev_b64_e32 v[11:12], 3, v[32:33]
	v_lshl_add_u32 v2, v34, 3, v40
	v_add_nc_u32_e32 v15, 0x44, v34
	s_delay_alu instid0(VALU_DEP_4)
	v_dual_mov_b32 v14, v35 :: v_dual_add_nc_u32 v13, 34, v34
	v_add3_u32 v1, v1, v4, v3
	v_lshlrev_b64_e32 v[17:18], 3, v[34:35]
	v_mov_b32_e32 v16, v35
	ds_load_2addr_b64 v[3:6], v2 offset1:34
	ds_load_2addr_b64 v[7:10], v2 offset0:68 offset1:102
	v_lshlrev_b64_e32 v[0:1], 3, v[0:1]
	v_lshlrev_b64_e32 v[13:14], 3, v[13:14]
	v_dual_mov_b32 v20, v35 :: v_dual_add_nc_u32 v19, 0x88, v34
	v_add_nc_u32_e32 v21, 0x132, v34
	v_add_nc_u32_e32 v25, 0x800, v2
	v_add_co_u32 v0, vcc_lo, s6, v0
	s_wait_alu 0xfffd
	v_add_co_ci_u32_e32 v1, vcc_lo, s7, v1, vcc_lo
	v_mov_b32_e32 v22, v35
	s_delay_alu instid0(VALU_DEP_3) | instskip(SKIP_1) | instid1(VALU_DEP_3)
	v_add_co_u32 v0, vcc_lo, v0, v11
	s_wait_alu 0xfffd
	v_add_co_ci_u32_e32 v1, vcc_lo, v1, v12, vcc_lo
	v_lshlrev_b64_e32 v[11:12], 3, v[15:16]
	s_delay_alu instid0(VALU_DEP_3) | instskip(SKIP_1) | instid1(VALU_DEP_3)
	v_add_co_u32 v15, vcc_lo, v0, v17
	s_wait_alu 0xfffd
	v_add_co_ci_u32_e32 v16, vcc_lo, v1, v18, vcc_lo
	v_dual_mov_b32 v18, v35 :: v_dual_add_nc_u32 v17, 0x66, v34
	v_add_co_u32 v13, vcc_lo, v0, v13
	s_wait_alu 0xfffd
	v_add_co_ci_u32_e32 v14, vcc_lo, v1, v14, vcc_lo
	s_delay_alu instid0(VALU_DEP_3) | instskip(SKIP_4) | instid1(VALU_DEP_4)
	v_lshlrev_b64_e32 v[17:18], 3, v[17:18]
	v_add_co_u32 v11, vcc_lo, v0, v11
	s_wait_alu 0xfffd
	v_add_co_ci_u32_e32 v12, vcc_lo, v1, v12, vcc_lo
	v_mov_b32_e32 v26, v35
	v_add_co_u32 v17, vcc_lo, v0, v17
	s_wait_alu 0xfffd
	v_add_co_ci_u32_e32 v18, vcc_lo, v1, v18, vcc_lo
	s_wait_dscnt 0x1
	s_clause 0x1
	global_store_b64 v[15:16], v[3:4], off
	global_store_b64 v[13:14], v[5:6], off
	s_wait_dscnt 0x0
	s_clause 0x1
	global_store_b64 v[11:12], v[7:8], off
	global_store_b64 v[17:18], v[9:10], off
	v_lshlrev_b64_e32 v[7:8], 3, v[19:20]
	v_dual_mov_b32 v10, v35 :: v_dual_add_nc_u32 v9, 0xaa, v34
	ds_load_2addr_b64 v[3:6], v2 offset0:136 offset1:170
	v_dual_mov_b32 v12, v35 :: v_dual_add_nc_u32 v11, 0xcc, v34
	v_add_co_u32 v13, vcc_lo, v0, v7
	s_wait_alu 0xfffd
	v_add_co_ci_u32_e32 v14, vcc_lo, v1, v8, vcc_lo
	v_lshlrev_b64_e32 v[15:16], 3, v[9:10]
	ds_load_2addr_b64 v[7:10], v2 offset0:204 offset1:238
	v_dual_mov_b32 v18, v35 :: v_dual_add_nc_u32 v17, 0xee, v34
	v_lshlrev_b64_e32 v[11:12], 3, v[11:12]
	v_add_nc_u32_e32 v19, 0x110, v34
	v_add_co_u32 v15, vcc_lo, v0, v15
	s_delay_alu instid0(VALU_DEP_4)
	v_lshlrev_b64_e32 v[17:18], 3, v[17:18]
	s_wait_alu 0xfffd
	v_add_co_ci_u32_e32 v16, vcc_lo, v1, v16, vcc_lo
	v_add_co_u32 v11, vcc_lo, v0, v11
	s_wait_alu 0xfffd
	v_add_co_ci_u32_e32 v12, vcc_lo, v1, v12, vcc_lo
	v_add_co_u32 v17, vcc_lo, v0, v17
	v_lshlrev_b64_e32 v[19:20], 3, v[19:20]
	s_wait_alu 0xfffd
	v_add_co_ci_u32_e32 v18, vcc_lo, v1, v18, vcc_lo
	s_wait_dscnt 0x1
	s_clause 0x1
	global_store_b64 v[13:14], v[3:4], off
	global_store_b64 v[15:16], v[5:6], off
	s_wait_dscnt 0x0
	s_clause 0x1
	global_store_b64 v[11:12], v[7:8], off
	global_store_b64 v[17:18], v[9:10], off
	v_dual_mov_b32 v12, v35 :: v_dual_add_nc_u32 v11, 0x154, v34
	v_mov_b32_e32 v14, v35
	v_lshlrev_b64_e32 v[7:8], 3, v[21:22]
	v_add_co_u32 v15, vcc_lo, v0, v19
	s_wait_alu 0xfffd
	v_add_co_ci_u32_e32 v16, vcc_lo, v1, v20, vcc_lo
	v_mov_b32_e32 v20, v35
	v_lshlrev_b64_e32 v[11:12], 3, v[11:12]
	v_add_nc_u32_e32 v13, 0x176, v34
	v_add_co_u32 v17, vcc_lo, v0, v7
	s_wait_alu 0xfffd
	v_add_co_ci_u32_e32 v18, vcc_lo, v1, v8, vcc_lo
	v_add_nc_u32_e32 v19, 0x198, v34
	v_add_co_u32 v21, vcc_lo, v0, v11
	ds_load_2addr_b64 v[3:6], v25 offset0:16 offset1:50
	v_lshlrev_b64_e32 v[23:24], 3, v[13:14]
	ds_load_2addr_b64 v[7:10], v25 offset0:84 offset1:118
	s_wait_alu 0xfffd
	v_add_co_ci_u32_e32 v22, vcc_lo, v1, v12, vcc_lo
	ds_load_2addr_b64 v[11:14], v25 offset0:152 offset1:186
	v_add_nc_u32_e32 v25, 0x1ba, v34
	v_lshlrev_b64_e32 v[19:20], 3, v[19:20]
	v_add_co_u32 v23, vcc_lo, v0, v23
	s_wait_alu 0xfffd
	v_add_co_ci_u32_e32 v24, vcc_lo, v1, v24, vcc_lo
	v_lshlrev_b64_e32 v[25:26], 3, v[25:26]
	s_delay_alu instid0(VALU_DEP_4) | instskip(SKIP_2) | instid1(VALU_DEP_3)
	v_add_co_u32 v19, vcc_lo, v0, v19
	s_wait_alu 0xfffd
	v_add_co_ci_u32_e32 v20, vcc_lo, v1, v20, vcc_lo
	v_add_co_u32 v25, vcc_lo, v0, v25
	s_wait_alu 0xfffd
	v_add_co_ci_u32_e32 v26, vcc_lo, v1, v26, vcc_lo
	v_cmp_eq_u32_e32 vcc_lo, 33, v34
	s_wait_dscnt 0x2
	s_clause 0x1
	global_store_b64 v[15:16], v[3:4], off
	global_store_b64 v[17:18], v[5:6], off
	s_wait_dscnt 0x1
	s_clause 0x1
	global_store_b64 v[21:22], v[7:8], off
	global_store_b64 v[23:24], v[9:10], off
	;; [unrolled: 4-line block ×3, first 2 shown]
	s_and_b32 exec_lo, exec_lo, vcc_lo
	s_cbranch_execz .LBB0_21
; %bb.20:
	ds_load_b64 v[2:3], v2 offset:3544
	s_wait_dscnt 0x0
	global_store_b64 v[0:1], v[2:3], off offset:3808
.LBB0_21:
	s_nop 0
	s_sendmsg sendmsg(MSG_DEALLOC_VGPRS)
	s_endpgm
	.section	.rodata,"a",@progbits
	.p2align	6, 0x0
	.amdhsa_kernel fft_rtc_back_len476_factors_17_2_7_2_wgs_102_tpt_34_halfLds_sp_op_CI_CI_unitstride_sbrr_R2C_dirReg
		.amdhsa_group_segment_fixed_size 0
		.amdhsa_private_segment_fixed_size 0
		.amdhsa_kernarg_size 104
		.amdhsa_user_sgpr_count 2
		.amdhsa_user_sgpr_dispatch_ptr 0
		.amdhsa_user_sgpr_queue_ptr 0
		.amdhsa_user_sgpr_kernarg_segment_ptr 1
		.amdhsa_user_sgpr_dispatch_id 0
		.amdhsa_user_sgpr_private_segment_size 0
		.amdhsa_wavefront_size32 1
		.amdhsa_uses_dynamic_stack 0
		.amdhsa_enable_private_segment 0
		.amdhsa_system_sgpr_workgroup_id_x 1
		.amdhsa_system_sgpr_workgroup_id_y 0
		.amdhsa_system_sgpr_workgroup_id_z 0
		.amdhsa_system_sgpr_workgroup_info 0
		.amdhsa_system_vgpr_workitem_id 0
		.amdhsa_next_free_vgpr 152
		.amdhsa_next_free_sgpr 39
		.amdhsa_reserve_vcc 1
		.amdhsa_float_round_mode_32 0
		.amdhsa_float_round_mode_16_64 0
		.amdhsa_float_denorm_mode_32 3
		.amdhsa_float_denorm_mode_16_64 3
		.amdhsa_fp16_overflow 0
		.amdhsa_workgroup_processor_mode 1
		.amdhsa_memory_ordered 1
		.amdhsa_forward_progress 0
		.amdhsa_round_robin_scheduling 0
		.amdhsa_exception_fp_ieee_invalid_op 0
		.amdhsa_exception_fp_denorm_src 0
		.amdhsa_exception_fp_ieee_div_zero 0
		.amdhsa_exception_fp_ieee_overflow 0
		.amdhsa_exception_fp_ieee_underflow 0
		.amdhsa_exception_fp_ieee_inexact 0
		.amdhsa_exception_int_div_zero 0
	.end_amdhsa_kernel
	.text
.Lfunc_end0:
	.size	fft_rtc_back_len476_factors_17_2_7_2_wgs_102_tpt_34_halfLds_sp_op_CI_CI_unitstride_sbrr_R2C_dirReg, .Lfunc_end0-fft_rtc_back_len476_factors_17_2_7_2_wgs_102_tpt_34_halfLds_sp_op_CI_CI_unitstride_sbrr_R2C_dirReg
                                        ; -- End function
	.section	.AMDGPU.csdata,"",@progbits
; Kernel info:
; codeLenInByte = 12824
; NumSgprs: 41
; NumVgprs: 152
; ScratchSize: 0
; MemoryBound: 0
; FloatMode: 240
; IeeeMode: 1
; LDSByteSize: 0 bytes/workgroup (compile time only)
; SGPRBlocks: 5
; VGPRBlocks: 18
; NumSGPRsForWavesPerEU: 41
; NumVGPRsForWavesPerEU: 152
; Occupancy: 9
; WaveLimiterHint : 1
; COMPUTE_PGM_RSRC2:SCRATCH_EN: 0
; COMPUTE_PGM_RSRC2:USER_SGPR: 2
; COMPUTE_PGM_RSRC2:TRAP_HANDLER: 0
; COMPUTE_PGM_RSRC2:TGID_X_EN: 1
; COMPUTE_PGM_RSRC2:TGID_Y_EN: 0
; COMPUTE_PGM_RSRC2:TGID_Z_EN: 0
; COMPUTE_PGM_RSRC2:TIDIG_COMP_CNT: 0
	.text
	.p2alignl 7, 3214868480
	.fill 96, 4, 3214868480
	.type	__hip_cuid_eb4aabbf4c0216cb,@object ; @__hip_cuid_eb4aabbf4c0216cb
	.section	.bss,"aw",@nobits
	.globl	__hip_cuid_eb4aabbf4c0216cb
__hip_cuid_eb4aabbf4c0216cb:
	.byte	0                               ; 0x0
	.size	__hip_cuid_eb4aabbf4c0216cb, 1

	.ident	"AMD clang version 19.0.0git (https://github.com/RadeonOpenCompute/llvm-project roc-6.4.0 25133 c7fe45cf4b819c5991fe208aaa96edf142730f1d)"
	.section	".note.GNU-stack","",@progbits
	.addrsig
	.addrsig_sym __hip_cuid_eb4aabbf4c0216cb
	.amdgpu_metadata
---
amdhsa.kernels:
  - .args:
      - .actual_access:  read_only
        .address_space:  global
        .offset:         0
        .size:           8
        .value_kind:     global_buffer
      - .offset:         8
        .size:           8
        .value_kind:     by_value
      - .actual_access:  read_only
        .address_space:  global
        .offset:         16
        .size:           8
        .value_kind:     global_buffer
      - .actual_access:  read_only
        .address_space:  global
        .offset:         24
        .size:           8
        .value_kind:     global_buffer
      - .actual_access:  read_only
        .address_space:  global
        .offset:         32
        .size:           8
        .value_kind:     global_buffer
      - .offset:         40
        .size:           8
        .value_kind:     by_value
      - .actual_access:  read_only
        .address_space:  global
        .offset:         48
        .size:           8
        .value_kind:     global_buffer
      - .actual_access:  read_only
        .address_space:  global
        .offset:         56
        .size:           8
        .value_kind:     global_buffer
      - .offset:         64
        .size:           4
        .value_kind:     by_value
      - .actual_access:  read_only
        .address_space:  global
        .offset:         72
        .size:           8
        .value_kind:     global_buffer
      - .actual_access:  read_only
        .address_space:  global
        .offset:         80
        .size:           8
        .value_kind:     global_buffer
      - .actual_access:  read_only
        .address_space:  global
        .offset:         88
        .size:           8
        .value_kind:     global_buffer
      - .actual_access:  write_only
        .address_space:  global
        .offset:         96
        .size:           8
        .value_kind:     global_buffer
    .group_segment_fixed_size: 0
    .kernarg_segment_align: 8
    .kernarg_segment_size: 104
    .language:       OpenCL C
    .language_version:
      - 2
      - 0
    .max_flat_workgroup_size: 102
    .name:           fft_rtc_back_len476_factors_17_2_7_2_wgs_102_tpt_34_halfLds_sp_op_CI_CI_unitstride_sbrr_R2C_dirReg
    .private_segment_fixed_size: 0
    .sgpr_count:     41
    .sgpr_spill_count: 0
    .symbol:         fft_rtc_back_len476_factors_17_2_7_2_wgs_102_tpt_34_halfLds_sp_op_CI_CI_unitstride_sbrr_R2C_dirReg.kd
    .uniform_work_group_size: 1
    .uses_dynamic_stack: false
    .vgpr_count:     152
    .vgpr_spill_count: 0
    .wavefront_size: 32
    .workgroup_processor_mode: 1
amdhsa.target:   amdgcn-amd-amdhsa--gfx1201
amdhsa.version:
  - 1
  - 2
...

	.end_amdgpu_metadata
